;; amdgpu-corpus repo=ROCm/rocFFT kind=compiled arch=gfx950 opt=O3
	.text
	.amdgcn_target "amdgcn-amd-amdhsa--gfx950"
	.amdhsa_code_object_version 6
	.protected	bluestein_single_fwd_len680_dim1_sp_op_CI_CI ; -- Begin function bluestein_single_fwd_len680_dim1_sp_op_CI_CI
	.globl	bluestein_single_fwd_len680_dim1_sp_op_CI_CI
	.p2align	8
	.type	bluestein_single_fwd_len680_dim1_sp_op_CI_CI,@function
bluestein_single_fwd_len680_dim1_sp_op_CI_CI: ; @bluestein_single_fwd_len680_dim1_sp_op_CI_CI
; %bb.0:
	s_load_dwordx4 s[8:11], s[0:1], 0x28
	v_mul_u32_u24_e32 v1, 0x3c4, v0
	v_lshrrev_b32_e32 v2, 16, v1
	v_mad_u64_u32 v[4:5], s[2:3], s2, 3, v[2:3]
	v_mov_b32_e32 v5, 0
	s_waitcnt lgkmcnt(0)
	v_cmp_gt_u64_e32 vcc, s[8:9], v[4:5]
	s_and_saveexec_b64 s[2:3], vcc
	s_cbranch_execz .LBB0_23
; %bb.1:
	v_mul_lo_u16_e32 v1, 0x44, v2
	s_mov_b32 s2, 0xaaaaaaab
	v_sub_u16_e32 v80, v0, v1
	v_mul_hi_u32 v0, v4, s2
	s_load_dwordx2 s[8:9], s[0:1], 0x0
	s_load_dwordx2 s[12:13], s[0:1], 0x38
	v_lshrrev_b32_e32 v0, 1, v0
	v_lshl_add_u32 v0, v0, 1, v0
	v_sub_u32_e32 v0, v4, v0
	v_mul_u32_u24_e32 v61, 0x2a8, v0
	v_accvgpr_write_b32 a2, v4
	v_cmp_gt_u16_e32 vcc, 40, v80
	v_lshlrev_b32_e32 v58, 3, v80
	v_lshlrev_b32_e32 v59, 3, v61
	s_and_saveexec_b64 s[14:15], vcc
	s_cbranch_execz .LBB0_3
; %bb.2:
	s_load_dwordx2 s[2:3], s[0:1], 0x18
	v_accvgpr_read_b32 v10, a2
	v_mov_b32_e32 v0, s10
	v_mov_b32_e32 v1, s11
	;; [unrolled: 1-line block ×3, first 2 shown]
	s_waitcnt lgkmcnt(0)
	s_load_dwordx4 s[4:7], s[2:3], 0x0
	v_or_b32_e32 v35, 0x140, v80
	v_mov_b32_e32 v40, 0x280
	v_mov_b32_e32 v30, v59
	;; [unrolled: 1-line block ×3, first 2 shown]
	s_waitcnt lgkmcnt(0)
	v_mad_u64_u32 v[2:3], s[2:3], s6, v10, 0
	v_mad_u64_u32 v[4:5], s[2:3], s4, v80, 0
	v_mov_b32_e32 v6, v3
	v_mov_b32_e32 v8, v5
	v_mad_u64_u32 v[6:7], s[2:3], s7, v10, v[6:7]
	v_mov_b32_e32 v3, v6
	v_mad_u64_u32 v[6:7], s[2:3], s5, v80, v[8:9]
	v_mov_b32_e32 v5, v6
	v_lshl_add_u64 v[2:3], v[2:3], 3, v[0:1]
	v_lshl_add_u64 v[4:5], v[4:5], 3, v[2:3]
	v_mad_u64_u32 v[14:15], s[2:3], s4, v60, v[4:5]
	s_mul_i32 s6, s5, 0x140
	v_add_u32_e32 v15, s6, v15
	v_mad_u64_u32 v[18:19], s[2:3], s4, v60, v[14:15]
	v_add_u32_e32 v19, s6, v19
	v_mad_u64_u32 v[20:21], s[2:3], s4, v60, v[18:19]
	;; [unrolled: 2-line block ×4, first 2 shown]
	global_load_dwordx2 v[0:1], v[4:5], off
	s_nop 0
	global_load_dwordx2 v[4:5], v58, s[8:9] offset:320
	global_load_dwordx2 v[6:7], v58, s[8:9] offset:640
	global_load_dwordx2 v[16:17], v[14:15], off
	global_load_dwordx2 v[12:13], v[18:19], off
	global_load_dwordx2 v[10:11], v[20:21], off
	global_load_dwordx2 v[8:9], v[24:25], off
	v_mov_b32_e32 v34, v33
	v_mad_u64_u32 v[24:25], s[2:3], s4, v60, v[24:25]
	v_mad_u64_u32 v[34:35], s[2:3], s5, v35, v[34:35]
	v_add_u32_e32 v25, s6, v25
	global_load_dwordx2 v[18:19], v58, s[8:9] offset:960
	global_load_dwordx2 v[14:15], v58, s[8:9] offset:1280
	;; [unrolled: 1-line block ×4, first 2 shown]
	v_mov_b32_e32 v33, v34
	global_load_dwordx2 v[34:35], v[24:25], off
	v_mad_u64_u32 v[24:25], s[2:3], s4, v60, v[24:25]
	v_add_u32_e32 v25, s6, v25
	global_load_dwordx2 v[36:37], v[24:25], off
	v_mad_u64_u32 v[24:25], s[2:3], s4, v60, v[24:25]
	v_add_u32_e32 v25, s6, v25
	s_mul_i32 s7, s5, 0x280
	global_load_dwordx2 v[38:39], v[24:25], off
	v_mad_u64_u32 v[24:25], s[2:3], s4, v40, v[24:25]
	v_add_u32_e32 v25, s7, v25
	v_or_b32_e32 v71, 0x280, v80
	global_load_dwordx2 v[26:27], v58, s[8:9]
	global_load_dwordx2 v[40:41], v[24:25], off
	v_mad_u64_u32 v[24:25], s[2:3], s4, v60, v[24:25]
	v_lshl_add_u64 v[28:29], s[8:9], 0, v[58:59]
	v_mov_b32_e32 v59, v30
	v_lshlrev_b32_e32 v30, 3, v71
	global_load_dwordx2 v[30:31], v30, s[8:9]
	v_lshl_add_u64 v[32:33], v[32:33], 3, v[2:3]
	v_add_u32_e32 v25, s6, v25
	global_load_dwordx2 v[32:33], v[32:33], off
	s_nop 0
	global_load_dwordx2 v[42:43], v58, s[8:9] offset:2240
	global_load_dwordx2 v[44:45], v[24:25], off
	global_load_dwordx2 v[46:47], v58, s[8:9] offset:2560
	global_load_dwordx2 v[48:49], v58, s[8:9] offset:2880
	;; [unrolled: 1-line block ×3, first 2 shown]
	v_mad_u64_u32 v[24:25], s[2:3], s4, v60, v[24:25]
	v_add_u32_e32 v25, s6, v25
	global_load_dwordx2 v[52:53], v[24:25], off
	v_mad_u64_u32 v[24:25], s[2:3], s4, v60, v[24:25]
	v_add_u32_e32 v25, s6, v25
	global_load_dwordx2 v[54:55], v[24:25], off
	global_load_dwordx2 v[56:57], v58, s[8:9] offset:3520
	global_load_dwordx2 v[62:63], v58, s[8:9] offset:3840
	v_mad_u64_u32 v[24:25], s[2:3], s4, v60, v[24:25]
	s_movk_i32 s2, 0x1000
	v_add_u32_e32 v25, s6, v25
	v_add_co_u32_e64 v28, s[2:3], s2, v28
	global_load_dwordx2 v[64:65], v[24:25], off
	s_nop 0
	v_addc_co_u32_e64 v29, s[2:3], 0, v29, s[2:3]
	v_mad_u64_u32 v[24:25], s[2:3], s4, v60, v[24:25]
	v_add_u32_e32 v25, s6, v25
	global_load_dwordx2 v[66:67], v[28:29], off offset:64
	v_mad_u64_u32 v[68:69], s[2:3], s4, v71, 0
	global_load_dwordx2 v[72:73], v[24:25], off
	global_load_dwordx2 v[74:75], v[28:29], off offset:384
	v_mad_u64_u32 v[24:25], s[2:3], s4, v60, v[24:25]
	v_mov_b32_e32 v70, v69
	v_add_u32_e32 v25, s6, v25
	global_load_dwordx2 v[76:77], v[24:25], off
	global_load_dwordx2 v[78:79], v[28:29], off offset:704
	v_mad_u64_u32 v[24:25], s[2:3], s5, v71, v[70:71]
	v_mov_b32_e32 v69, v24
	v_lshl_add_u64 v[2:3], v[68:69], 3, v[2:3]
	global_load_dwordx2 v[2:3], v[2:3], off
	v_lshl_add_u32 v28, v80, 3, v59
	v_add_u32_e32 v29, v59, v58
	s_waitcnt vmcnt(19)
	v_mul_f32_e32 v24, v1, v27
	v_mul_f32_e32 v25, v0, v27
	v_fmac_f32_e32 v24, v0, v26
	v_fma_f32 v25, v1, v26, -v25
	v_mul_f32_e32 v0, v17, v5
	v_mul_f32_e32 v1, v16, v5
	v_fmac_f32_e32 v0, v16, v4
	v_fma_f32 v1, v17, v4, -v1
	;; [unrolled: 4-line block ×3, first 2 shown]
	ds_write_b64 v28, v[24:25]
	ds_write2_b64 v29, v[0:1], v[4:5] offset0:40 offset1:80
	v_mul_f32_e32 v0, v11, v19
	v_mul_f32_e32 v1, v10, v19
	;; [unrolled: 1-line block ×4, first 2 shown]
	v_fmac_f32_e32 v0, v10, v18
	v_fma_f32 v1, v11, v18, -v1
	v_fmac_f32_e32 v4, v8, v14
	v_fma_f32 v5, v9, v14, -v5
	ds_write2_b64 v29, v[0:1], v[4:5] offset0:120 offset1:160
	v_mul_f32_e32 v0, v35, v21
	v_mul_f32_e32 v1, v34, v21
	v_mul_f32_e32 v4, v37, v23
	v_mul_f32_e32 v5, v36, v23
	v_fmac_f32_e32 v0, v34, v20
	v_fma_f32 v1, v35, v20, -v1
	v_fmac_f32_e32 v4, v36, v22
	v_fma_f32 v5, v37, v22, -v5
	ds_write2_b64 v29, v[0:1], v[4:5] offset0:200 offset1:240
	s_waitcnt vmcnt(15)
	v_mul_f32_e32 v0, v39, v43
	v_mul_f32_e32 v1, v38, v43
	s_waitcnt vmcnt(13)
	v_mul_f32_e32 v4, v33, v47
	v_mul_f32_e32 v5, v32, v47
	v_fmac_f32_e32 v0, v38, v42
	v_fma_f32 v1, v39, v42, -v1
	v_fmac_f32_e32 v4, v32, v46
	v_fma_f32 v5, v33, v46, -v5
	v_add_u32_e32 v6, 0x800, v29
	ds_write2_b64 v6, v[0:1], v[4:5] offset0:24 offset1:64
	s_waitcnt vmcnt(12)
	v_mul_f32_e32 v0, v41, v49
	v_mul_f32_e32 v1, v40, v49
	s_waitcnt vmcnt(11)
	v_mul_f32_e32 v4, v45, v51
	v_mul_f32_e32 v5, v44, v51
	v_fmac_f32_e32 v0, v40, v48
	v_fma_f32 v1, v41, v48, -v1
	v_fmac_f32_e32 v4, v44, v50
	v_fma_f32 v5, v45, v50, -v5
	ds_write2_b64 v6, v[0:1], v[4:5] offset0:104 offset1:144
	s_waitcnt vmcnt(8)
	v_mul_f32_e32 v0, v53, v57
	v_mul_f32_e32 v1, v52, v57
	s_waitcnt vmcnt(7)
	v_mul_f32_e32 v4, v55, v63
	v_mul_f32_e32 v5, v54, v63
	v_fmac_f32_e32 v0, v52, v56
	v_fma_f32 v1, v53, v56, -v1
	v_fmac_f32_e32 v4, v54, v62
	v_fma_f32 v5, v55, v62, -v5
	;; [unrolled: 11-line block ×3, first 2 shown]
	v_add_u32_e32 v6, 0x1000, v29
	ds_write2_b64 v6, v[0:1], v[4:5] offset0:8 offset1:48
	s_waitcnt vmcnt(0)
	v_mul_f32_e32 v4, v3, v31
	v_mul_f32_e32 v0, v77, v79
	;; [unrolled: 1-line block ×3, first 2 shown]
	v_fmac_f32_e32 v4, v2, v30
	v_mul_f32_e32 v2, v2, v31
	v_fmac_f32_e32 v0, v76, v78
	v_fma_f32 v1, v77, v78, -v1
	v_fma_f32 v5, v3, v30, -v2
	ds_write2_b64 v6, v[0:1], v[4:5] offset0:88 offset1:128
.LBB0_3:
	s_or_b64 exec, exec, s[14:15]
	v_accvgpr_write_b32 a0, v80
	v_mov_b32_e32 v0, 0
	v_mov_b32_e32 v1, 0
	s_waitcnt lgkmcnt(0)
	s_barrier
	s_waitcnt lgkmcnt(0)
                                        ; implicit-def: $vgpr6
                                        ; implicit-def: $vgpr12
                                        ; implicit-def: $vgpr10
                                        ; implicit-def: $vgpr20
                                        ; implicit-def: $vgpr18
                                        ; implicit-def: $vgpr34
                                        ; implicit-def: $vgpr24
                                        ; implicit-def: $vgpr44
	s_and_saveexec_b64 s[2:3], vcc
	s_cbranch_execz .LBB0_5
; %bb.4:
	v_lshl_add_u32 v28, v61, 3, v58
	ds_read2_b64 v[0:3], v28 offset1:40
	ds_read2_b64 v[24:27], v28 offset0:80 offset1:120
	ds_read2_b64 v[16:19], v28 offset0:160 offset1:200
	v_add_u32_e32 v4, 0x400, v28
	v_add_u32_e32 v12, 0x800, v28
	;; [unrolled: 1-line block ×4, first 2 shown]
	ds_read2_b64 v[8:11], v4 offset0:112 offset1:152
	ds_read2_b64 v[4:7], v12 offset0:64 offset1:104
	;; [unrolled: 1-line block ×5, first 2 shown]
	ds_read_b64 v[44:45], v28 offset:5120
.LBB0_5:
	s_or_b64 exec, exec, s[2:3]
	s_waitcnt lgkmcnt(0)
	v_pk_add_f32 v[30:31], v[2:3], v[44:45] neg_lo:[0,1] neg_hi:[0,1]
	s_mov_b32 s10, 0xbf4c4adb
	v_pk_add_f32 v[28:29], v[44:45], v[2:3]
	s_mov_b32 s4, 0xbf1a4643
	v_pk_mul_f32 v[36:37], v[30:31], s[10:11] op_sel_hi:[1,0]
	v_pk_add_f32 v[70:71], v[24:25], v[34:35] neg_lo:[0,1] neg_hi:[0,1]
	s_mov_b32 s16, 0x3f763a35
	v_pk_fma_f32 v[38:39], v[28:29], s[4:5], v[36:37] op_sel:[0,0,1] op_sel_hi:[1,0,0]
	v_pk_add_f32 v[68:69], v[34:35], v[24:25]
	s_mov_b32 s14, 0xbe8c1d8e
	v_pk_fma_f32 v[48:49], v[28:29], s[4:5], v[36:37] op_sel:[0,0,1] op_sel_hi:[1,0,0] neg_lo:[0,0,1] neg_hi:[0,0,1]
	v_accvgpr_write_b32 a1, v39
	v_mov_b32_e32 v36, v38
	v_pk_mul_f32 v[38:39], v[70:71], s[16:17] op_sel_hi:[1,0]
	v_mov_b32_e32 v37, v49
	v_pk_fma_f32 v[40:41], v[68:69], s[14:15], v[38:39] op_sel:[0,0,1] op_sel_hi:[1,0,0]
	v_pk_fma_f32 v[52:53], v[68:69], s[14:15], v[38:39] op_sel:[0,0,1] op_sel_hi:[1,0,0] neg_lo:[0,0,1] neg_hi:[0,0,1]
	s_mov_b32 s6, 0xbeb8f4ab
	v_pk_add_f32 v[74:75], v[26:27], v[32:33] neg_lo:[0,1] neg_hi:[0,1]
	v_mov_b32_e32 v38, v40
	v_mov_b32_e32 v39, v53
	v_pk_add_f32 v[36:37], v[36:37], v[0:1]
	s_mov_b32 s2, 0x3f6eb680
	v_pk_add_f32 v[72:73], v[32:33], v[26:27]
	v_pk_add_f32 v[36:37], v[38:39], v[36:37]
	v_pk_mul_f32 v[38:39], v[74:75], s[6:7] op_sel_hi:[1,0]
	v_accvgpr_write_b32 a3, v41
	v_pk_fma_f32 v[40:41], v[72:73], s[2:3], v[38:39] op_sel:[0,0,1] op_sel_hi:[1,0,0]
	v_pk_fma_f32 v[62:63], v[72:73], s[2:3], v[38:39] op_sel:[0,0,1] op_sel_hi:[1,0,0] neg_lo:[0,0,1] neg_hi:[0,0,1]
	v_mov_b32_e32 v38, v40
	v_mov_b32_e32 v39, v63
	s_mov_b32 s20, 0xbf06c442
	v_pk_add_f32 v[144:145], v[16:17], v[22:23] neg_lo:[0,1] neg_hi:[0,1]
	v_pk_add_f32 v[36:37], v[38:39], v[36:37]
	s_mov_b32 s18, 0xbf59a7d5
	v_pk_add_f32 v[140:141], v[22:23], v[16:17]
	v_pk_mul_f32 v[38:39], v[144:145], s[20:21] op_sel:[1,0] op_sel_hi:[0,0]
	v_accvgpr_write_b32 a5, v41
	v_pk_fma_f32 v[40:41], v[140:141], s[18:19], v[38:39] op_sel_hi:[1,0,1]
	v_pk_fma_f32 v[66:67], v[140:141], s[18:19], v[38:39] op_sel_hi:[1,0,1] neg_lo:[0,0,1] neg_hi:[0,0,1]
	v_mov_b32_e32 v38, v40
	v_mov_b32_e32 v39, v67
	s_mov_b32 s30, 0x3f7ee86f
	v_pk_add_f32 v[134:135], v[18:19], v[20:21] neg_lo:[0,1] neg_hi:[0,1]
	v_pk_add_f32 v[36:37], v[38:39], v[36:37]
	s_mov_b32 s28, 0x3dbcf732
	v_pk_add_f32 v[132:133], v[20:21], v[18:19]
	v_pk_mul_f32 v[38:39], v[134:135], s[30:31] op_sel:[1,0] op_sel_hi:[0,0]
	v_accvgpr_write_b32 a7, v41
	v_pk_fma_f32 v[40:41], v[132:133], s[28:29], v[38:39] op_sel_hi:[1,0,1]
	v_pk_fma_f32 v[78:79], v[132:133], s[28:29], v[38:39] op_sel_hi:[1,0,1] neg_lo:[0,0,1] neg_hi:[0,0,1]
	;; [unrolled: 11-line block ×4, first 2 shown]
	v_mov_b32_e32 v38, v40
	v_mov_b32_e32 v39, v87
	v_pk_add_f32 v[36:37], v[38:39], v[36:37]
	v_pk_mul_f32 v[38:39], v[30:31], s[20:21] op_sel_hi:[1,0]
	v_accvgpr_write_b32 a13, v41
	s_mov_b32 s36, 0x3f65296c
	v_pk_fma_f32 v[40:41], v[28:29], s[18:19], v[38:39] op_sel:[0,0,1] op_sel_hi:[1,0,0]
	s_mov_b32 s34, 0x3ee437d1
	v_pk_fma_f32 v[90:91], v[28:29], s[18:19], v[38:39] op_sel:[0,0,1] op_sel_hi:[1,0,0] neg_lo:[0,0,1] neg_hi:[0,0,1]
	v_accvgpr_write_b32 a15, v41
	v_mov_b32_e32 v38, v40
	v_pk_mul_f32 v[40:41], v[70:71], s[36:37] op_sel_hi:[1,0]
	v_mov_b32_e32 v39, v91
	v_pk_fma_f32 v[42:43], v[68:69], s[34:35], v[40:41] op_sel:[0,0,1] op_sel_hi:[1,0,0]
	v_pk_fma_f32 v[94:95], v[68:69], s[34:35], v[40:41] op_sel:[0,0,1] op_sel_hi:[1,0,0] neg_lo:[0,0,1] neg_hi:[0,0,1]
	v_mov_b32_e32 v40, v42
	v_mov_b32_e32 v41, v95
	v_pk_add_f32 v[38:39], v[38:39], v[0:1]
	s_mov_b32 s40, 0xbf7ee86f
	v_pk_add_f32 v[38:39], v[40:41], v[38:39]
	v_pk_mul_f32 v[40:41], v[74:75], s[40:41] op_sel_hi:[1,0]
	v_accvgpr_write_b32 a17, v43
	v_pk_fma_f32 v[42:43], v[72:73], s[28:29], v[40:41] op_sel:[0,0,1] op_sel_hi:[1,0,0]
	v_pk_fma_f32 v[98:99], v[72:73], s[28:29], v[40:41] op_sel:[0,0,1] op_sel_hi:[1,0,0] neg_lo:[0,0,1] neg_hi:[0,0,1]
	v_mov_b32_e32 v40, v42
	v_mov_b32_e32 v41, v99
	s_mov_b32 s42, 0x3f4c4adb
	v_pk_add_f32 v[38:39], v[40:41], v[38:39]
	v_pk_mul_f32 v[40:41], v[144:145], s[42:43] op_sel:[1,0] op_sel_hi:[0,0]
	v_accvgpr_write_b32 a19, v43
	v_pk_fma_f32 v[42:43], v[140:141], s[4:5], v[40:41] op_sel_hi:[1,0,1]
	v_pk_fma_f32 v[102:103], v[140:141], s[4:5], v[40:41] op_sel_hi:[1,0,1] neg_lo:[0,0,1] neg_hi:[0,0,1]
	v_mov_b32_e32 v40, v42
	v_mov_b32_e32 v41, v103
	v_pk_add_f32 v[38:39], v[40:41], v[38:39]
	v_pk_mul_f32 v[40:41], v[134:135], s[6:7] op_sel:[1,0] op_sel_hi:[0,0]
	v_accvgpr_write_b32 a21, v43
	v_pk_fma_f32 v[42:43], v[132:133], s[2:3], v[40:41] op_sel_hi:[1,0,1]
	v_pk_fma_f32 v[106:107], v[132:133], s[2:3], v[40:41] op_sel_hi:[1,0,1] neg_lo:[0,0,1] neg_hi:[0,0,1]
	v_mov_b32_e32 v40, v42
	v_mov_b32_e32 v41, v107
	;; [unrolled: 7-line block ×3, first 2 shown]
	s_mov_b32 s38, 0x3f2c7751
	v_pk_add_f32 v[38:39], v[40:41], v[38:39]
	v_pk_mul_f32 v[40:41], v[126:127], s[38:39] op_sel:[1,0] op_sel_hi:[0,0]
	v_pk_fma_f32 v[112:113], v[124:125], s[22:23], v[40:41] op_sel_hi:[1,0,1]
	v_pk_fma_f32 v[114:115], v[124:125], s[22:23], v[40:41] op_sel_hi:[1,0,1] neg_lo:[0,0,1] neg_hi:[0,0,1]
	v_mov_b32_e32 v40, v112
	v_mov_b32_e32 v41, v115
	v_pk_add_f32 v[138:139], v[4:5], v[6:7] neg_lo:[0,1] neg_hi:[0,1]
	v_pk_add_f32 v[40:41], v[40:41], v[38:39]
	v_pk_add_f32 v[136:137], v[6:7], v[4:5]
	v_pk_mul_f32 v[38:39], v[138:139], s[36:37] op_sel:[1,0] op_sel_hi:[0,0]
	v_pk_fma_f32 v[120:121], v[136:137], s[34:35], v[38:39] op_sel_hi:[1,0,1]
	v_pk_fma_f32 v[122:123], v[136:137], s[34:35], v[38:39] op_sel_hi:[1,0,1] neg_lo:[0,0,1] neg_hi:[0,0,1]
	s_mov_b32 s46, 0xbf763a35
	v_mov_b32_e32 v38, v120
	v_mov_b32_e32 v39, v123
	v_pk_add_f32 v[38:39], v[38:39], v[36:37]
	v_pk_mul_f32 v[36:37], v[138:139], s[46:47] op_sel:[1,0] op_sel_hi:[0,0]
	v_pk_fma_f32 v[116:117], v[136:137], s[14:15], v[36:37] op_sel_hi:[1,0,1]
	v_pk_fma_f32 v[118:119], v[136:137], s[14:15], v[36:37] op_sel_hi:[1,0,1] neg_lo:[0,0,1] neg_hi:[0,0,1]
	v_mov_b32_e32 v36, v116
	v_mov_b32_e32 v37, v119
	v_pk_add_f32 v[36:37], v[36:37], v[40:41]
	s_mov_b32 s44, 0x3eb8f4ab
	v_pk_mul_f32 v[40:41], v[30:31], s[26:27] op_sel_hi:[1,0]
	v_accvgpr_write_b32 a25, v43
	v_pk_fma_f32 v[42:43], v[28:29], s[24:25], v[40:41] op_sel:[0,0,1] op_sel_hi:[1,0,0]
	v_pk_fma_f32 v[40:41], v[28:29], s[24:25], v[40:41] op_sel:[0,0,1] op_sel_hi:[1,0,0] neg_lo:[0,0,1] neg_hi:[0,0,1]
	v_pk_mul_f32 v[50:51], v[70:71], s[44:45] op_sel_hi:[1,0]
	v_mov_b32_e32 v46, v42
	v_mov_b32_e32 v47, v41
	v_pk_fma_f32 v[54:55], v[68:69], s[2:3], v[50:51] op_sel:[0,0,1] op_sel_hi:[1,0,0]
	v_pk_fma_f32 v[50:51], v[68:69], s[2:3], v[50:51] op_sel:[0,0,1] op_sel_hi:[1,0,0] neg_lo:[0,0,1] neg_hi:[0,0,1]
	v_mov_b32_e32 v56, v54
	v_mov_b32_e32 v57, v51
	v_pk_add_f32 v[46:47], v[46:47], v[0:1]
	v_mov_b32_e32 v41, v43
	v_pk_add_f32 v[46:47], v[56:57], v[46:47]
	v_pk_mul_f32 v[56:57], v[74:75], s[20:21] op_sel_hi:[1,0]
	v_mov_b32_e32 v51, v55
	v_pk_fma_f32 v[64:65], v[72:73], s[18:19], v[56:57] op_sel:[0,0,1] op_sel_hi:[1,0,0]
	v_pk_fma_f32 v[56:57], v[72:73], s[18:19], v[56:57] op_sel:[0,0,1] op_sel_hi:[1,0,0] neg_lo:[0,0,1] neg_hi:[0,0,1]
	v_mov_b32_e32 v76, v64
	v_mov_b32_e32 v77, v57
	v_pk_add_f32 v[46:47], v[76:77], v[46:47]
	v_pk_mul_f32 v[76:77], v[144:145], s[38:39] op_sel:[1,0] op_sel_hi:[0,0]
	v_pk_fma_f32 v[80:81], v[140:141], s[22:23], v[76:77] op_sel_hi:[1,0,1]
	v_pk_fma_f32 v[76:77], v[140:141], s[22:23], v[76:77] op_sel_hi:[1,0,1] neg_lo:[0,0,1] neg_hi:[0,0,1]
	v_mov_b32_e32 v84, v80
	v_mov_b32_e32 v85, v77
	v_pk_add_f32 v[46:47], v[84:85], v[46:47]
	v_pk_mul_f32 v[84:85], v[134:135], s[10:11] op_sel:[1,0] op_sel_hi:[0,0]
	v_pk_fma_f32 v[88:89], v[132:133], s[4:5], v[84:85] op_sel_hi:[1,0,1]
	v_pk_fma_f32 v[84:85], v[132:133], s[4:5], v[84:85] op_sel_hi:[1,0,1] neg_lo:[0,0,1] neg_hi:[0,0,1]
	v_pk_add_f32 v[40:41], v[40:41], v[0:1]
	v_mov_b32_e32 v92, v88
	v_mov_b32_e32 v93, v85
	;; [unrolled: 1-line block ×3, first 2 shown]
	v_pk_add_f32 v[40:41], v[50:51], v[40:41]
	v_pk_add_f32 v[46:47], v[92:93], v[46:47]
	v_pk_mul_f32 v[92:93], v[130:131], s[36:37] op_sel:[1,0] op_sel_hi:[0,0]
	v_mov_b32_e32 v77, v81
	v_pk_add_f32 v[40:41], v[56:57], v[40:41]
	v_pk_fma_f32 v[96:97], v[128:129], s[34:35], v[92:93] op_sel_hi:[1,0,1]
	v_pk_fma_f32 v[92:93], v[128:129], s[34:35], v[92:93] op_sel_hi:[1,0,1] neg_lo:[0,0,1] neg_hi:[0,0,1]
	v_mov_b32_e32 v85, v89
	v_pk_mul_f32 v[42:43], v[126:127], s[46:47] op_sel:[1,0] op_sel_hi:[0,0]
	v_pk_add_f32 v[40:41], v[76:77], v[40:41]
	v_mov_b32_e32 v100, v96
	v_mov_b32_e32 v101, v93
	v_mov_b32_e32 v93, v97
	v_pk_fma_f32 v[54:55], v[124:125], s[14:15], v[42:43] op_sel_hi:[1,0,1]
	v_pk_fma_f32 v[42:43], v[124:125], s[14:15], v[42:43] op_sel_hi:[1,0,1] neg_lo:[0,0,1] neg_hi:[0,0,1]
	v_pk_add_f32 v[40:41], v[84:85], v[40:41]
	v_pk_add_f32 v[46:47], v[100:101], v[46:47]
	v_mov_b32_e32 v64, v54
	v_mov_b32_e32 v65, v43
	v_mov_b32_e32 v43, v55
	v_pk_add_f32 v[40:41], v[92:93], v[40:41]
	s_mov_b32 s50, 0x3e3c28d5
	v_pk_add_f32 v[40:41], v[42:43], v[40:41]
	v_pk_add_f32 v[42:43], v[64:65], v[46:47]
	v_pk_mul_f32 v[46:47], v[136:137], s[28:29] op_sel_hi:[1,0]
	v_pk_mul_f32 v[64:65], v[70:71], s[26:27] op_sel_hi:[1,0]
	v_pk_fma_f32 v[50:51], v[138:139], s[30:31], v[46:47] op_sel:[1,0,0] op_sel_hi:[0,0,1] neg_lo:[1,0,0] neg_hi:[1,0,0]
	v_pk_fma_f32 v[46:47], v[138:139], s[30:31], v[46:47] op_sel:[1,0,0] op_sel_hi:[0,0,1]
	v_mov_b32_e32 v55, v47
	v_mov_b32_e32 v47, v51
	v_pk_add_f32 v[42:43], v[46:47], v[42:43]
	v_pk_mul_f32 v[46:47], v[30:31], s[6:7] op_sel_hi:[1,0]
	v_mov_b32_e32 v54, v50
	v_pk_fma_f32 v[172:173], v[28:29], s[2:3], v[46:47] op_sel:[0,0,1] op_sel_hi:[1,0,0]
	v_pk_fma_f32 v[162:163], v[28:29], s[2:3], v[46:47] op_sel:[0,0,1] op_sel_hi:[1,0,0] neg_lo:[0,0,1] neg_hi:[0,0,1]
	v_pk_mul_f32 v[50:51], v[70:71], s[48:49] op_sel_hi:[1,0]
	v_mov_b32_e32 v46, v172
	v_mov_b32_e32 v47, v163
	v_pk_fma_f32 v[164:165], v[68:69], s[22:23], v[50:51] op_sel:[0,0,1] op_sel_hi:[1,0,0]
	v_pk_fma_f32 v[166:167], v[68:69], s[22:23], v[50:51] op_sel:[0,0,1] op_sel_hi:[1,0,0] neg_lo:[0,0,1] neg_hi:[0,0,1]
	v_pk_add_f32 v[46:47], v[46:47], v[0:1]
	v_mov_b32_e32 v50, v164
	v_mov_b32_e32 v51, v167
	v_pk_add_f32 v[46:47], v[50:51], v[46:47]
	v_pk_mul_f32 v[50:51], v[30:31], s[48:49] op_sel_hi:[1,0]
	v_pk_add_f32 v[40:41], v[54:55], v[40:41]
	v_pk_fma_f32 v[180:181], v[28:29], s[22:23], v[50:51] op_sel:[0,0,1] op_sel_hi:[1,0,0]
	v_pk_fma_f32 v[154:155], v[28:29], s[22:23], v[50:51] op_sel:[0,0,1] op_sel_hi:[1,0,0] neg_lo:[0,0,1] neg_hi:[0,0,1]
	v_pk_mul_f32 v[50:51], v[70:71], s[40:41] op_sel_hi:[1,0]
	s_mov_b32 s48, 0xbf65296c
	v_pk_fma_f32 v[182:183], v[68:69], s[28:29], v[50:51] op_sel:[0,0,1] op_sel_hi:[1,0,0]
	v_pk_fma_f32 v[156:157], v[68:69], s[28:29], v[50:51] op_sel:[0,0,1] op_sel_hi:[1,0,0] neg_lo:[0,0,1] neg_hi:[0,0,1]
	v_mov_b32_e32 v50, v180
	v_mov_b32_e32 v51, v155
	v_pk_add_f32 v[50:51], v[50:51], v[0:1]
	v_mov_b32_e32 v54, v182
	v_mov_b32_e32 v55, v157
	v_pk_add_f32 v[50:51], v[54:55], v[50:51]
	v_pk_mul_f32 v[54:55], v[70:71], s[10:11] op_sel_hi:[1,0]
	v_pk_fma_f32 v[204:205], v[68:69], s[24:25], v[64:65] op_sel:[0,0,1] op_sel_hi:[1,0,0]
	v_pk_fma_f32 v[188:189], v[68:69], s[4:5], v[54:55] op_sel:[0,0,1] op_sel_hi:[1,0,0]
	v_pk_fma_f32 v[148:149], v[68:69], s[4:5], v[54:55] op_sel:[0,0,1] op_sel_hi:[1,0,0] neg_lo:[0,0,1] neg_hi:[0,0,1]
	v_pk_mul_f32 v[54:55], v[30:31], s[48:49] op_sel_hi:[1,0]
	v_mov_b32_e32 v56, v188
	v_pk_fma_f32 v[192:193], v[28:29], s[34:35], v[54:55] op_sel:[0,0,1] op_sel_hi:[1,0,0]
	v_pk_fma_f32 v[150:151], v[28:29], s[34:35], v[54:55] op_sel:[0,0,1] op_sel_hi:[1,0,0] neg_lo:[0,0,1] neg_hi:[0,0,1]
	v_mov_b32_e32 v54, v192
	v_mov_b32_e32 v55, v151
	v_pk_add_f32 v[54:55], v[54:55], v[0:1]
	v_mov_b32_e32 v57, v149
	v_pk_add_f32 v[54:55], v[56:57], v[54:55]
	v_pk_mul_f32 v[56:57], v[30:31], s[40:41] op_sel_hi:[1,0]
	v_pk_fma_f32 v[146:147], v[68:69], s[24:25], v[64:65] op_sel:[0,0,1] op_sel_hi:[1,0,0] neg_lo:[0,0,1] neg_hi:[0,0,1]
	v_pk_fma_f32 v[198:199], v[28:29], s[28:29], v[56:57] op_sel:[0,0,1] op_sel_hi:[1,0,0]
	v_pk_fma_f32 v[142:143], v[28:29], s[28:29], v[56:57] op_sel:[0,0,1] op_sel_hi:[1,0,0] neg_lo:[0,0,1] neg_hi:[0,0,1]
	v_mov_b32_e32 v56, v198
	v_mov_b32_e32 v57, v143
	;; [unrolled: 1-line block ×4, first 2 shown]
	v_pk_add_f32 v[56:57], v[56:57], v[0:1]
	v_pk_mul_f32 v[30:31], v[30:31], s[46:47] op_sel_hi:[1,0]
	v_pk_add_f32 v[56:57], v[64:65], v[56:57]
	v_pk_mul_f32 v[64:65], v[74:75], s[48:49] op_sel_hi:[1,0]
	v_pk_fma_f32 v[238:239], v[28:29], s[14:15], v[30:31] op_sel:[0,0,1] op_sel_hi:[1,0,0]
	v_pk_fma_f32 v[184:185], v[72:73], s[34:35], v[64:65] op_sel:[0,0,1] op_sel_hi:[1,0,0]
	v_pk_fma_f32 v[186:187], v[72:73], s[34:35], v[64:65] op_sel:[0,0,1] op_sel_hi:[1,0,0] neg_lo:[0,0,1] neg_hi:[0,0,1]
	v_mov_b32_e32 v64, v184
	v_mov_b32_e32 v65, v187
	v_pk_add_f32 v[46:47], v[64:65], v[46:47]
	v_pk_mul_f32 v[64:65], v[74:75], s[10:11] op_sel_hi:[1,0]
	v_pk_fma_f32 v[152:153], v[28:29], s[14:15], v[30:31] op_sel:[0,0,1] op_sel_hi:[1,0,0] neg_lo:[0,0,1] neg_hi:[0,0,1]
	v_pk_fma_f32 v[174:175], v[72:73], s[4:5], v[64:65] op_sel:[0,0,1] op_sel_hi:[1,0,0]
	v_pk_fma_f32 v[176:177], v[72:73], s[4:5], v[64:65] op_sel:[0,0,1] op_sel_hi:[1,0,0] neg_lo:[0,0,1] neg_hi:[0,0,1]
	v_mov_b32_e32 v64, v174
	v_mov_b32_e32 v65, v177
	v_pk_add_f32 v[50:51], v[64:65], v[50:51]
	v_pk_mul_f32 v[64:65], v[74:75], s[50:51] op_sel_hi:[1,0]
	s_mov_b32 s50, 0x3f06c442
	v_pk_mul_f32 v[28:29], v[70:71], s[50:51] op_sel_hi:[1,0]
	v_pk_fma_f32 v[214:215], v[72:73], s[24:25], v[64:65] op_sel:[0,0,1] op_sel_hi:[1,0,0]
	v_pk_fma_f32 v[240:241], v[68:69], s[18:19], v[28:29] op_sel:[0,0,1] op_sel_hi:[1,0,0]
	v_pk_fma_f32 v[68:69], v[68:69], s[18:19], v[28:29] op_sel:[0,0,1] op_sel_hi:[1,0,0] neg_lo:[0,0,1] neg_hi:[0,0,1]
	v_pk_mul_f32 v[28:29], v[74:75], s[38:39] op_sel_hi:[1,0]
	v_mov_b32_e32 v30, v240
	v_pk_fma_f32 v[242:243], v[72:73], s[22:23], v[28:29] op_sel:[0,0,1] op_sel_hi:[1,0,0]
	v_pk_fma_f32 v[158:159], v[72:73], s[22:23], v[28:29] op_sel:[0,0,1] op_sel_hi:[1,0,0] neg_lo:[0,0,1] neg_hi:[0,0,1]
	v_mov_b32_e32 v28, v238
	v_mov_b32_e32 v29, v153
	;; [unrolled: 1-line block ×3, first 2 shown]
	v_pk_add_f32 v[28:29], v[28:29], v[0:1]
	v_pk_fma_f32 v[168:169], v[72:73], s[24:25], v[64:65] op_sel:[0,0,1] op_sel_hi:[1,0,0] neg_lo:[0,0,1] neg_hi:[0,0,1]
	v_pk_add_f32 v[28:29], v[30:31], v[28:29]
	v_mov_b32_e32 v30, v242
	v_mov_b32_e32 v31, v159
	v_pk_add_f32 v[28:29], v[30:31], v[28:29]
	v_pk_mul_f32 v[30:31], v[144:145], s[40:41] op_sel:[1,0] op_sel_hi:[0,0]
	v_pk_fma_f32 v[206:207], v[140:141], s[28:29], v[30:31] op_sel_hi:[1,0,1]
	v_pk_fma_f32 v[208:209], v[140:141], s[28:29], v[30:31] op_sel_hi:[1,0,1] neg_lo:[0,0,1] neg_hi:[0,0,1]
	v_mov_b32_e32 v30, v206
	v_mov_b32_e32 v31, v209
	v_pk_add_f32 v[30:31], v[30:31], v[46:47]
	v_pk_mul_f32 v[46:47], v[144:145], s[26:27] op_sel:[1,0] op_sel_hi:[0,0]
	v_mov_b32_e32 v64, v214
	v_mov_b32_e32 v65, v169
	v_pk_fma_f32 v[194:195], v[140:141], s[24:25], v[46:47] op_sel_hi:[1,0,1]
	v_pk_fma_f32 v[196:197], v[140:141], s[24:25], v[46:47] op_sel_hi:[1,0,1] neg_lo:[0,0,1] neg_hi:[0,0,1]
	v_pk_add_f32 v[64:65], v[64:65], v[54:55]
	v_pk_mul_f32 v[54:55], v[74:75], s[16:17] op_sel_hi:[1,0]
	v_mov_b32_e32 v46, v194
	v_mov_b32_e32 v47, v197
	v_pk_fma_f32 v[220:221], v[72:73], s[14:15], v[54:55] op_sel:[0,0,1] op_sel_hi:[1,0,0]
	v_pk_fma_f32 v[160:161], v[72:73], s[14:15], v[54:55] op_sel:[0,0,1] op_sel_hi:[1,0,0] neg_lo:[0,0,1] neg_hi:[0,0,1]
	v_pk_add_f32 v[46:47], v[46:47], v[50:51]
	v_pk_mul_f32 v[50:51], v[144:145], s[44:45] op_sel:[1,0] op_sel_hi:[0,0]
	v_mov_b32_e32 v54, v220
	v_mov_b32_e32 v55, v161
	v_pk_fma_f32 v[252:253], v[140:141], s[2:3], v[50:51] op_sel_hi:[1,0,1]
	v_pk_fma_f32 v[178:179], v[140:141], s[2:3], v[50:51] op_sel_hi:[1,0,1] neg_lo:[0,0,1] neg_hi:[0,0,1]
	v_pk_mul_f32 v[50:51], v[144:145], s[48:49] op_sel:[1,0] op_sel_hi:[0,0]
	v_pk_add_f32 v[56:57], v[54:55], v[56:57]
	v_pk_fma_f32 v[54:55], v[140:141], s[34:35], v[50:51] op_sel_hi:[1,0,1]
	v_pk_fma_f32 v[170:171], v[140:141], s[34:35], v[50:51] op_sel_hi:[1,0,1] neg_lo:[0,0,1] neg_hi:[0,0,1]
	v_pk_mul_f32 v[50:51], v[144:145], s[16:17] op_sel:[1,0] op_sel_hi:[0,0]
	v_pk_fma_f32 v[144:145], v[140:141], s[14:15], v[50:51] op_sel_hi:[1,0,1]
	v_pk_fma_f32 v[190:191], v[140:141], s[14:15], v[50:51] op_sel_hi:[1,0,1] neg_lo:[0,0,1] neg_hi:[0,0,1]
	v_mov_b32_e32 v50, v144
	v_mov_b32_e32 v51, v191
	v_pk_add_f32 v[50:51], v[50:51], v[64:65]
	v_mov_b32_e32 v64, v252
	v_mov_b32_e32 v65, v179
	v_pk_add_f32 v[56:57], v[64:65], v[56:57]
	;; [unrolled: 3-line block ×3, first 2 shown]
	v_pk_mul_f32 v[64:65], v[134:135], s[46:47] op_sel:[1,0] op_sel_hi:[0,0]
	v_pk_fma_f32 v[226:227], v[132:133], s[14:15], v[64:65] op_sel_hi:[1,0,1]
	v_pk_fma_f32 v[228:229], v[132:133], s[14:15], v[64:65] op_sel_hi:[1,0,1] neg_lo:[0,0,1] neg_hi:[0,0,1]
	v_mov_b32_e32 v64, v226
	v_mov_b32_e32 v65, v229
	v_pk_add_f32 v[30:31], v[64:65], v[30:31]
	v_pk_mul_f32 v[64:65], v[134:135], s[50:51] op_sel:[1,0] op_sel_hi:[0,0]
	v_pk_fma_f32 v[216:217], v[132:133], s[18:19], v[64:65] op_sel_hi:[1,0,1]
	v_pk_fma_f32 v[218:219], v[132:133], s[18:19], v[64:65] op_sel_hi:[1,0,1] neg_lo:[0,0,1] neg_hi:[0,0,1]
	v_mov_b32_e32 v64, v216
	v_mov_b32_e32 v65, v219
	v_pk_add_f32 v[64:65], v[64:65], v[46:47]
	;; [unrolled: 6-line block ×3, first 2 shown]
	v_pk_mul_f32 v[46:47], v[134:135], s[26:27] op_sel:[1,0] op_sel_hi:[0,0]
	v_pk_fma_f32 v[96:97], v[132:133], s[24:25], v[46:47] op_sel_hi:[1,0,1]
	v_pk_fma_f32 v[140:141], v[132:133], s[24:25], v[46:47] op_sel_hi:[1,0,1] neg_lo:[0,0,1] neg_hi:[0,0,1]
	v_pk_mul_f32 v[46:47], v[134:135], s[48:49] op_sel:[1,0] op_sel_hi:[0,0]
	v_pk_fma_f32 v[134:135], v[132:133], s[34:35], v[46:47] op_sel_hi:[1,0,1]
	v_pk_fma_f32 v[132:133], v[132:133], s[34:35], v[46:47] op_sel_hi:[1,0,1] neg_lo:[0,0,1] neg_hi:[0,0,1]
	v_mov_b32_e32 v46, v134
	v_mov_b32_e32 v47, v133
	v_pk_add_f32 v[56:57], v[46:47], v[56:57]
	v_mov_b32_e32 v46, v96
	v_mov_b32_e32 v47, v141
	v_pk_mul_f32 v[70:71], v[130:131], s[10:11] op_sel:[1,0] op_sel_hi:[0,0]
	v_pk_add_f32 v[28:29], v[46:47], v[28:29]
	v_pk_fma_f32 v[46:47], v[128:129], s[4:5], v[70:71] op_sel_hi:[1,0,1]
	v_pk_fma_f32 v[254:255], v[128:129], s[4:5], v[70:71] op_sel_hi:[1,0,1] neg_lo:[0,0,1] neg_hi:[0,0,1]
	v_mov_b32_e32 v70, v46
	v_mov_b32_e32 v71, v255
	v_pk_add_f32 v[30:31], v[70:71], v[30:31]
	v_pk_mul_f32 v[70:71], v[130:131], s[16:17] op_sel:[1,0] op_sel_hi:[0,0]
	v_pk_fma_f32 v[234:235], v[128:129], s[14:15], v[70:71] op_sel_hi:[1,0,1]
	v_pk_fma_f32 v[236:237], v[128:129], s[14:15], v[70:71] op_sel_hi:[1,0,1] neg_lo:[0,0,1] neg_hi:[0,0,1]
	v_mov_b32_e32 v70, v234
	v_mov_b32_e32 v71, v237
	v_pk_add_f32 v[64:65], v[70:71], v[64:65]
	v_pk_mul_f32 v[70:71], v[130:131], s[6:7] op_sel:[1,0] op_sel_hi:[0,0]
	;; [unrolled: 6-line block ×13, first 2 shown]
	v_pk_mul_f32 v[108:109], v[138:139], s[10:11] op_sel:[1,0] op_sel_hi:[0,0]
	v_pk_fma_f32 v[104:105], v[136:137], s[24:25], v[100:101] op_sel_hi:[1,0,1]
	v_pk_fma_f32 v[100:101], v[136:137], s[24:25], v[100:101] op_sel_hi:[1,0,1] neg_lo:[0,0,1] neg_hi:[0,0,1]
	v_pk_fma_f32 v[138:139], v[136:137], s[4:5], v[108:109] op_sel_hi:[1,0,1]
	v_pk_fma_f32 v[136:137], v[136:137], s[4:5], v[108:109] op_sel_hi:[1,0,1] neg_lo:[0,0,1] neg_hi:[0,0,1]
	s_load_dwordx2 s[4:5], s[0:1], 0x20
	s_load_dwordx2 s[2:3], s[0:1], 0x8
	v_mov_b32_e32 v108, v138
	v_mov_b32_e32 v109, v137
	v_pk_add_f32 v[74:75], v[108:109], v[74:75]
	v_mov_b32_e32 v108, v104
	v_mov_b32_e32 v109, v101
	v_accvgpr_read_b32 v46, a0
	v_pk_add_f32 v[30:31], v[108:109], v[30:31]
	v_mul_lo_u16_e32 v56, 17, v46
	s_waitcnt lgkmcnt(0)
	s_barrier
	s_and_saveexec_b64 s[0:1], vcc
	s_cbranch_execz .LBB0_7
; %bb.6:
	v_pk_add_f32 v[2:3], v[2:3], v[0:1]
	v_mov_b32_e32 v163, v173
	v_pk_add_f32 v[2:3], v[24:25], v[2:3]
	v_mov_b32_e32 v167, v165
	;; [unrolled: 2-line block ×7, first 2 shown]
	v_pk_add_f32 v[2:3], v[4:5], v[2:3]
	v_pk_add_f32 v[4:5], v[162:163], v[0:1]
	v_pk_add_f32 v[2:3], v[6:7], v[2:3]
	v_pk_add_f32 v[4:5], v[166:167], v[4:5]
	v_pk_add_f32 v[2:3], v[12:13], v[2:3]
	v_pk_add_f32 v[4:5], v[186:187], v[4:5]
	v_pk_add_f32 v[2:3], v[14:15], v[2:3]
	v_pk_add_f32 v[4:5], v[208:209], v[4:5]
	v_pk_add_f32 v[2:3], v[20:21], v[2:3]
	v_pk_add_f32 v[4:5], v[228:229], v[4:5]
	v_pk_add_f32 v[2:3], v[22:23], v[2:3]
	v_pk_add_f32 v[4:5], v[254:255], v[4:5]
	v_pk_add_f32 v[2:3], v[32:33], v[2:3]
	v_pk_add_f32 v[4:5], v[80:81], v[4:5]
	v_pk_add_f32 v[2:3], v[34:35], v[2:3]
	v_mov_b32_e32 v101, v105
	v_mov_b32_e32 v151, v193
	;; [unrolled: 1-line block ×3, first 2 shown]
	v_add_lshl_u32 v16, v61, v56, 3
	v_pk_add_f32 v[2:3], v[44:45], v[2:3]
	v_pk_add_f32 v[4:5], v[100:101], v[4:5]
	v_mov_b32_e32 v149, v189
	v_mov_b32_e32 v157, v183
	ds_write2_b64 v16, v[2:3], v[4:5] offset1:1
	v_pk_add_f32 v[2:3], v[154:155], v[0:1]
	v_pk_add_f32 v[4:5], v[150:151], v[0:1]
	v_mov_b32_e32 v169, v215
	v_pk_add_f32 v[2:3], v[156:157], v[2:3]
	v_mov_b32_e32 v177, v175
	v_pk_add_f32 v[4:5], v[148:149], v[4:5]
	v_pk_add_f32 v[2:3], v[176:177], v[2:3]
	v_mov_b32_e32 v197, v195
	v_pk_add_f32 v[4:5], v[168:169], v[4:5]
	v_mov_b32_e32 v191, v145
	;; [unrolled: 2-line block ×10, first 2 shown]
	v_mov_b32_e32 v153, v239
	v_mov_b32_e32 v143, v199
	v_pk_add_f32 v[2:3], v[84:85], v[2:3]
	v_pk_add_f32 v[4:5], v[64:65], v[4:5]
	v_mov_b32_e32 v69, v241
	v_mov_b32_e32 v147, v205
	ds_write2_b64 v16, v[2:3], v[4:5] offset0:2 offset1:3
	v_pk_add_f32 v[2:3], v[142:143], v[0:1]
	v_pk_add_f32 v[4:5], v[152:153], v[0:1]
	v_mov_b32_e32 v159, v243
	v_mov_b32_e32 v161, v221
	v_pk_add_f32 v[2:3], v[146:147], v[2:3]
	v_pk_add_f32 v[4:5], v[68:69], v[4:5]
	v_mov_b32_e32 v171, v55
	v_mov_b32_e32 v179, v253
	v_pk_add_f32 v[2:3], v[160:161], v[2:3]
	v_pk_add_f32 v[4:5], v[158:159], v[4:5]
	v_mov_b32_e32 v141, v97
	v_pk_add_f32 v[2:3], v[178:179], v[2:3]
	v_mov_b32_e32 v133, v135
	v_pk_add_f32 v[4:5], v[170:171], v[4:5]
	v_pk_add_f32 v[2:3], v[132:133], v[2:3]
	v_mov_b32_e32 v213, v211
	v_pk_add_f32 v[4:5], v[140:141], v[4:5]
	v_mov_b32_e32 v129, v131
	;; [unrolled: 2-line block ×6, first 2 shown]
	v_pk_add_f32 v[2:3], v[250:251], v[2:3]
	v_pk_add_f32 v[4:5], v[136:137], v[4:5]
	v_accvgpr_read_b32 v49, a1
	v_accvgpr_read_b32 v91, a15
	ds_write2_b64 v16, v[2:3], v[4:5] offset0:4 offset1:5
	v_pk_add_f32 v[2:3], v[48:49], v[0:1]
	v_accvgpr_read_b32 v53, a3
	v_pk_add_f32 v[0:1], v[90:91], v[0:1]
	v_accvgpr_read_b32 v95, a17
	;; [unrolled: 2-line block ×11, first 2 shown]
	v_pk_add_f32 v[0:1], v[110:111], v[0:1]
	v_mov_b32_e32 v115, v113
	v_pk_add_f32 v[2:3], v[86:87], v[2:3]
	v_mov_b32_e32 v123, v121
	;; [unrolled: 2-line block ×3, first 2 shown]
	v_pk_add_f32 v[2:3], v[122:123], v[2:3]
	v_pk_add_f32 v[0:1], v[118:119], v[0:1]
	ds_write2_b64 v16, v[2:3], v[0:1] offset0:6 offset1:7
	ds_write2_b64 v16, v[40:41], v[42:43] offset0:8 offset1:9
	;; [unrolled: 1-line block ×5, first 2 shown]
	ds_write_b64 v16, v[30:31] offset:128
.LBB0_7:
	s_or_b64 exec, exec, s[0:1]
	v_accvgpr_read_b32 v146, a0
	v_add_lshl_u32 v251, v61, v146, 3
	v_add_u32_e32 v0, 0x800, v251
	s_waitcnt lgkmcnt(0)
	s_barrier
	ds_read2_b64 v[12:15], v251 offset1:68
	ds_read2_b64 v[24:27], v251 offset0:170 offset1:238
	ds_read2_b64 v[20:23], v0 offset0:84 offset1:152
	v_add_u32_e32 v0, 0xc00, v251
	ds_read2_b64 v[16:19], v0 offset0:126 offset1:194
	v_cmp_gt_u16_e64 s[0:1], 34, v146
	s_and_saveexec_b64 s[6:7], s[0:1]
	s_cbranch_execz .LBB0_9
; %bb.8:
	v_add_u32_e32 v0, 0x400, v251
	ds_read2_b64 v[40:43], v0 offset0:8 offset1:178
	v_add_u32_e32 v0, 0xe00, v251
	ds_read2_b64 v[36:39], v0 offset0:28 offset1:198
.LBB0_9:
	s_or_b64 exec, exec, s[6:7]
	s_movk_i32 s10, 0xf1
	v_mul_lo_u16_sdwa v0, v146, s10 dst_sel:DWORD dst_unused:UNUSED_PAD src0_sel:BYTE_0 src1_sel:DWORD
	v_lshrrev_b16_e32 v34, 12, v0
	v_mul_lo_u16_e32 v0, 17, v34
	v_sub_u16_e32 v0, v146, v0
	v_and_b32_e32 v35, 0xff, v0
	v_mad_u64_u32 v[0:1], s[6:7], v35, 24, s[2:3]
	v_add_u16_e32 v10, 0x44, v146
	global_load_dwordx2 v[64:65], v[0:1], off offset:16
	global_load_dwordx4 v[4:7], v[0:1], off
	v_mul_lo_u16_sdwa v0, v10, s10 dst_sel:DWORD dst_unused:UNUSED_PAD src0_sel:BYTE_0 src1_sel:DWORD
	v_lshrrev_b16_e32 v44, 12, v0
	v_add_u16_e32 v0, 0x88, v146
	v_mul_lo_u16_sdwa v1, v0, s10 dst_sel:DWORD dst_unused:UNUSED_PAD src0_sel:BYTE_0 src1_sel:DWORD
	v_lshrrev_b16_e32 v1, 12, v1
	v_accvgpr_write_b32 a1, v1
	v_mul_lo_u16_e32 v1, 17, v1
	v_sub_u16_e32 v0, v0, v1
	v_and_b32_e32 v0, 0xff, v0
	v_mad_u64_u32 v[8:9], s[6:7], v0, 24, s[2:3]
	v_accvgpr_write_b32 a3, v0
	global_load_dwordx2 v[152:153], v[8:9], off offset:16
	global_load_dwordx4 v[0:3], v[8:9], off
	v_mul_lo_u16_e32 v8, 17, v44
	v_sub_u16_e32 v8, v10, v8
	v_and_b32_e32 v45, 0xff, v8
	v_mad_u64_u32 v[32:33], s[6:7], v45, 24, s[2:3]
	global_load_dwordx4 v[8:11], v[32:33], off
	global_load_dwordx2 v[66:67], v[32:33], off offset:16
	v_mul_u32_u24_e32 v32, 0x44, v34
	v_mul_u32_u24_e32 v33, 0x44, v44
	v_add_u32_e32 v32, v32, v35
	v_add_u32_e32 v33, v33, v45
	v_add_lshl_u32 v217, v61, v32, 3
	v_add_lshl_u32 v216, v61, v33, 3
	s_load_dwordx4 s[4:7], s[4:5], 0x0
	s_waitcnt lgkmcnt(0)
	s_barrier
	s_waitcnt vmcnt(5)
	v_pk_mul_f32 v[50:51], v[16:17], v[64:65] op_sel:[0,1]
	s_waitcnt vmcnt(4)
	v_pk_mul_f32 v[46:47], v[24:25], v[4:5] op_sel:[0,1]
	v_mov_b32_e32 v48, v7
	s_waitcnt vmcnt(3)
	v_pk_mul_f32 v[44:45], v[38:39], v[152:153] op_sel_hi:[0,1]
	s_waitcnt vmcnt(2)
	v_pk_mul_f32 v[32:33], v[42:43], v[0:1] op_sel_hi:[0,1]
	v_pk_mul_f32 v[34:35], v[36:37], v[2:3] op_sel:[1,0]
	v_pk_fma_f32 v[76:77], v[42:43], v[0:1], v[32:33] op_sel:[1,0,1] op_sel_hi:[1,1,0]
	v_pk_fma_f32 v[32:33], v[42:43], v[0:1], v[32:33] op_sel:[1,0,1] op_sel_hi:[1,1,0] neg_lo:[1,0,0] neg_hi:[1,0,0]
	v_pk_fma_f32 v[42:43], v[36:37], v[2:3], v[34:35] op_sel:[0,0,1] op_sel_hi:[1,1,0] neg_lo:[0,0,1] neg_hi:[0,0,1]
	v_pk_fma_f32 v[34:35], v[36:37], v[2:3], v[34:35] op_sel:[0,0,1] op_sel_hi:[0,1,0]
	v_pk_fma_f32 v[36:37], v[38:39], v[152:153], v[44:45] op_sel:[1,0,1] op_sel_hi:[1,1,0]
	v_pk_fma_f32 v[38:39], v[38:39], v[152:153], v[44:45] op_sel:[1,0,1] op_sel_hi:[1,1,0] neg_lo:[1,0,0] neg_hi:[1,0,0]
	v_pk_fma_f32 v[44:45], v[24:25], v[4:5], v[46:47] op_sel:[0,0,1] op_sel_hi:[1,1,0] neg_lo:[0,0,1] neg_hi:[0,0,1]
	v_pk_fma_f32 v[24:25], v[24:25], v[4:5], v[46:47] op_sel:[0,0,1] op_sel_hi:[1,0,0]
	v_pk_mul_f32 v[46:47], v[20:21], v[48:49] op_sel_hi:[1,0]
	s_waitcnt vmcnt(1)
	v_pk_mul_f32 v[52:53], v[26:27], v[8:9] op_sel:[0,1]
	v_mov_b32_e32 v54, v11
	v_pk_fma_f32 v[48:49], v[16:17], v[64:65], v[50:51] op_sel:[0,0,1] op_sel_hi:[1,1,0] neg_lo:[0,0,1] neg_hi:[0,0,1]
	v_pk_fma_f32 v[16:17], v[16:17], v[64:65], v[50:51] op_sel:[0,0,1] op_sel_hi:[1,0,0]
	v_mov_b32_e32 v45, v25
	v_pk_fma_f32 v[24:25], v[20:21], v[6:7], v[46:47] op_sel:[0,0,1] op_sel_hi:[1,1,0] neg_lo:[0,0,1] neg_hi:[0,0,1]
	v_pk_fma_f32 v[20:21], v[20:21], v[6:7], v[46:47] op_sel:[0,0,1] op_sel_hi:[1,0,0]
	v_pk_fma_f32 v[50:51], v[26:27], v[8:9], v[52:53] op_sel:[0,0,1] op_sel_hi:[1,1,0] neg_lo:[0,0,1] neg_hi:[0,0,1]
	v_pk_fma_f32 v[26:27], v[26:27], v[8:9], v[52:53] op_sel:[0,0,1] op_sel_hi:[1,0,0]
	v_pk_mul_f32 v[52:53], v[22:23], v[54:55] op_sel_hi:[1,0]
	v_mov_b32_e32 v77, v33
	v_mov_b32_e32 v43, v35
	v_mov_b32_e32 v37, v39
	v_mov_b32_e32 v49, v17
	v_mov_b32_e32 v25, v21
	v_mov_b32_e32 v51, v27
	v_pk_fma_f32 v[26:27], v[22:23], v[10:11], v[52:53] op_sel:[0,0,1] op_sel_hi:[1,1,0] neg_lo:[0,0,1] neg_hi:[0,0,1]
	v_pk_fma_f32 v[22:23], v[22:23], v[10:11], v[52:53] op_sel:[0,0,1] op_sel_hi:[1,0,0]
	v_pk_add_f32 v[16:17], v[40:41], v[42:43] neg_lo:[0,1] neg_hi:[0,1]
	v_pk_add_f32 v[34:35], v[76:77], v[36:37] neg_lo:[0,1] neg_hi:[0,1]
	v_pk_add_f32 v[36:37], v[44:45], v[48:49] neg_lo:[0,1] neg_hi:[0,1]
	v_pk_add_f32 v[24:25], v[12:13], v[24:25] neg_lo:[0,1] neg_hi:[0,1]
	v_mov_b32_e32 v27, v23
	v_pk_fma_f32 v[20:21], v[40:41], 2.0, v[16:17] op_sel_hi:[1,0,1] neg_lo:[0,0,1] neg_hi:[0,0,1]
	v_pk_fma_f32 v[22:23], v[76:77], 2.0, v[34:35] op_sel_hi:[1,0,1] neg_lo:[0,0,1] neg_hi:[0,0,1]
	v_pk_add_f32 v[32:33], v[16:17], v[34:35] neg_lo:[0,1] neg_hi:[0,1]
	v_pk_add_f32 v[34:35], v[16:17], v[34:35]
	v_pk_fma_f32 v[40:41], v[44:45], 2.0, v[36:37] op_sel_hi:[1,0,1] neg_lo:[0,0,1] neg_hi:[0,0,1]
	v_pk_fma_f32 v[12:13], v[12:13], 2.0, v[24:25] op_sel_hi:[1,0,1] neg_lo:[0,0,1] neg_hi:[0,0,1]
	v_pk_add_f32 v[38:39], v[20:21], v[22:23] op_sel:[0,1] op_sel_hi:[1,0] neg_lo:[0,1] neg_hi:[0,1]
	v_mov_b32_e32 v33, v35
	v_pk_add_f32 v[22:23], v[24:25], v[36:37] op_sel:[0,1] op_sel_hi:[1,0] neg_lo:[0,1] neg_hi:[0,1]
	v_pk_add_f32 v[34:35], v[24:25], v[36:37] op_sel:[0,1] op_sel_hi:[1,0]
	v_pk_add_f32 v[36:37], v[12:13], v[40:41] neg_lo:[0,1] neg_hi:[0,1]
	s_waitcnt vmcnt(0)
	v_pk_mul_f32 v[68:69], v[18:19], v[66:67] op_sel:[0,1]
	v_mov_b32_e32 v23, v35
	v_pk_fma_f32 v[12:13], v[12:13], 2.0, v[36:37] op_sel_hi:[1,0,1] neg_lo:[0,0,1] neg_hi:[0,0,1]
	v_pk_fma_f32 v[54:55], v[18:19], v[66:67], v[68:69] op_sel:[0,0,1] op_sel_hi:[1,1,0] neg_lo:[0,0,1] neg_hi:[0,0,1]
	v_pk_fma_f32 v[24:25], v[24:25], 2.0, v[22:23] op_sel_hi:[1,0,1] neg_lo:[0,0,1] neg_hi:[0,0,1]
	ds_write2_b64 v217, v[36:37], v[22:23] offset0:34 offset1:51
	ds_write2_b64 v217, v[12:13], v[24:25] offset1:17
	v_pk_fma_f32 v[12:13], v[18:19], v[66:67], v[68:69] op_sel:[0,0,1] op_sel_hi:[1,0,0]
	s_nop 0
	v_mov_b32_e32 v55, v13
	v_pk_add_f32 v[12:13], v[14:15], v[26:27] neg_lo:[0,1] neg_hi:[0,1]
	v_pk_add_f32 v[18:19], v[50:51], v[54:55] neg_lo:[0,1] neg_hi:[0,1]
	v_pk_fma_f32 v[14:15], v[14:15], 2.0, v[12:13] op_sel_hi:[1,0,1] neg_lo:[0,0,1] neg_hi:[0,0,1]
	v_pk_fma_f32 v[22:23], v[50:51], 2.0, v[18:19] op_sel_hi:[1,0,1] neg_lo:[0,0,1] neg_hi:[0,0,1]
	v_pk_add_f32 v[24:25], v[12:13], v[18:19] op_sel:[0,1] op_sel_hi:[1,0] neg_lo:[0,1] neg_hi:[0,1]
	v_pk_add_f32 v[18:19], v[12:13], v[18:19] op_sel:[0,1] op_sel_hi:[1,0]
	v_pk_add_f32 v[22:23], v[14:15], v[22:23] neg_lo:[0,1] neg_hi:[0,1]
	v_mov_b32_e32 v25, v19
	v_pk_fma_f32 v[14:15], v[14:15], 2.0, v[22:23] op_sel_hi:[1,0,1] neg_lo:[0,0,1] neg_hi:[0,0,1]
	v_pk_fma_f32 v[12:13], v[12:13], 2.0, v[24:25] op_sel_hi:[1,0,1] neg_lo:[0,0,1] neg_hi:[0,0,1]
	ds_write2_b64 v216, v[14:15], v[12:13] offset1:17
	ds_write2_b64 v216, v[22:23], v[24:25] offset0:34 offset1:51
	s_and_saveexec_b64 s[10:11], s[0:1]
	s_cbranch_execz .LBB0_11
; %bb.10:
	v_accvgpr_read_b32 v12, a1
	v_mul_u32_u24_e32 v12, 0x44, v12
	v_accvgpr_read_b32 v13, a3
	v_add_u32_e32 v12, v12, v13
	v_add_lshl_u32 v18, v61, v12, 3
	v_pk_fma_f32 v[12:13], v[20:21], 2.0, v[38:39] op_sel_hi:[1,0,1] neg_lo:[0,0,1] neg_hi:[0,0,1]
	v_pk_fma_f32 v[14:15], v[16:17], 2.0, v[32:33] op_sel_hi:[1,0,1] neg_lo:[0,0,1] neg_hi:[0,0,1]
	ds_write2_b64 v18, v[12:13], v[14:15] offset1:17
	ds_write2_b64 v18, v[38:39], v[32:33] offset0:34 offset1:51
.LBB0_11:
	s_or_b64 exec, exec, s[10:11]
	s_movk_i32 s10, 0x48
	v_mov_b64_e32 v[12:13], s[2:3]
	v_mad_u64_u32 v[34:35], s[2:3], v146, s10, v[12:13]
	s_waitcnt lgkmcnt(0)
	s_barrier
	global_load_dwordx4 v[24:27], v[34:35], off offset:408
	global_load_dwordx4 v[20:23], v[34:35], off offset:424
	;; [unrolled: 1-line block ×4, first 2 shown]
	global_load_dwordx2 v[68:69], v[34:35], off offset:472
	ds_read2_b64 v[34:37], v251 offset1:68
	ds_read2_b64 v[40:43], v251 offset0:136 offset1:204
	v_add_u32_e32 v52, 0x800, v251
	v_add_u32_e32 v44, 0x1000, v251
	ds_read2_b64 v[44:47], v44 offset0:32 offset1:100
	ds_read2_b64 v[48:51], v52 offset0:84 offset1:152
	;; [unrolled: 1-line block ×3, first 2 shown]
	s_waitcnt lgkmcnt(4)
	v_mov_b32_e32 v76, v37
	s_waitcnt lgkmcnt(3)
	v_mov_b32_e32 v78, v43
	s_waitcnt lgkmcnt(2)
	v_mov_b32_e32 v80, v47
	s_mov_b32 s2, 0x3f737871
	s_mov_b32 s3, 0xbf737871
	;; [unrolled: 1-line block ×6, first 2 shown]
	v_lshl_add_u32 v250, v146, 3, v59
	s_movk_i32 s16, 0x1000
	s_waitcnt vmcnt(4)
	v_pk_mul_f32 v[82:83], v[36:37], v[24:25]
	v_mov_b32_e32 v84, v25
	s_waitcnt vmcnt(3)
	v_pk_mul_f32 v[86:87], v[42:43], v[20:21]
	v_mov_b32_e32 v88, v21
	;; [unrolled: 3-line block ×3, first 2 shown]
	s_waitcnt lgkmcnt(1)
	v_pk_mul_f32 v[92:93], v[48:49], v[16:17] op_sel:[1,0] op_sel_hi:[0,1]
	v_mov_b32_e32 v94, v13
	v_mov_b32_e32 v98, v69
	;; [unrolled: 1-line block ×5, first 2 shown]
	s_waitcnt lgkmcnt(0)
	v_pk_mul_f32 v[96:97], v[54:55], v[12:13] op_sel:[1,0] op_sel_hi:[0,1]
	v_mov_b32_e32 v106, v15
	v_pk_mul_f32 v[36:37], v[36:37], v[84:85]
	v_mov_b32_e32 v84, v82
	v_mov_b32_e32 v85, v86
	;; [unrolled: 1-line block ×3, first 2 shown]
	v_pk_mul_f32 v[42:43], v[42:43], v[88:89]
	v_pk_mul_f32 v[82:83], v[48:49], v[90:91] op_sel:[1,0] op_sel_hi:[0,1]
	v_pk_mul_f32 v[88:89], v[54:55], v[94:95] op_sel:[1,0] op_sel_hi:[0,1]
	v_mov_b32_e32 v90, v92
	v_mov_b32_e32 v92, v99
	v_pk_mul_f32 v[94:95], v[46:47], v[98:99]
	v_pk_mul_f32 v[98:99], v[40:41], v[100:101] op_sel_hi:[1,0]
	v_pk_mul_f32 v[100:101], v[52:53], v[102:103] op_sel_hi:[1,0]
	;; [unrolled: 1-line block ×3, first 2 shown]
	v_mov_b32_e32 v91, v96
	v_mov_b32_e32 v96, v93
	v_pk_mul_f32 v[104:105], v[44:45], v[106:107] op_sel_hi:[1,0]
	v_pk_fma_f32 v[36:37], v[76:77], v[24:25], v[36:37]
	v_pk_add_f32 v[76:77], v[84:85], v[86:87] neg_lo:[0,1] neg_hi:[0,1]
	v_pk_fma_f32 v[42:43], v[78:79], v[20:21], v[42:43]
	v_pk_fma_f32 v[46:47], v[46:47], v[68:69], v[92:93] neg_lo:[0,0,1] neg_hi:[0,0,1]
	v_pk_fma_f32 v[84:85], v[52:53], v[22:23], v[100:101] op_sel:[0,0,1] op_sel_hi:[1,1,0] neg_lo:[0,0,1] neg_hi:[0,0,1]
	v_pk_fma_f32 v[52:53], v[52:53], v[22:23], v[100:101] op_sel:[0,0,1] op_sel_hi:[1,0,0]
	v_pk_fma_f32 v[86:87], v[50:51], v[18:19], v[102:103] op_sel:[0,0,1] op_sel_hi:[1,1,0] neg_lo:[0,0,1] neg_hi:[0,0,1]
	v_pk_fma_f32 v[50:51], v[50:51], v[18:19], v[102:103] op_sel:[0,0,1] op_sel_hi:[1,0,0]
	v_pk_fma_f32 v[48:49], v[48:49], v[16:17], v[82:83] neg_lo:[0,0,1] neg_hi:[0,0,1]
	v_pk_fma_f32 v[54:55], v[54:55], v[12:13], v[88:89] neg_lo:[0,0,1] neg_hi:[0,0,1]
	v_pk_add_f32 v[78:79], v[90:91], v[96:97]
	v_pk_fma_f32 v[82:83], v[40:41], v[26:27], v[98:99] op_sel:[0,0,1] op_sel_hi:[1,1,0] neg_lo:[0,0,1] neg_hi:[0,0,1]
	v_pk_fma_f32 v[40:41], v[40:41], v[26:27], v[98:99] op_sel:[0,0,1] op_sel_hi:[1,0,0]
	v_pk_fma_f32 v[88:89], v[44:45], v[14:15], v[104:105] op_sel:[0,0,1] op_sel_hi:[1,1,0] neg_lo:[0,0,1] neg_hi:[0,0,1]
	v_pk_fma_f32 v[44:45], v[44:45], v[14:15], v[104:105] op_sel:[0,0,1] op_sel_hi:[1,0,0]
	v_add_f32_e32 v50, v77, v46
	v_pk_add_f32 v[92:93], v[36:37], v[42:43]
	v_mov_b32_e32 v85, v53
	v_mov_b32_e32 v87, v51
	v_pk_fma_f32 v[80:81], v[80:81], v[68:69], v[94:95]
	v_mov_b32_e32 v40, v77
	v_mov_b32_e32 v83, v41
	v_mov_b32_e32 v89, v45
	v_mul_f32_e32 v45, 0.5, v50
	v_pk_add_f32 v[50:51], v[92:93], v[78:79]
	v_pk_add_f32 v[92:93], v[84:85], v[86:87]
	v_mov_b32_e32 v44, v79
	v_add_f32_e32 v37, v42, v80
	v_pk_add_f32 v[40:41], v[76:77], v[40:41]
	v_pk_fma_f32 v[92:93], v[92:93], 0.5, v[34:35] op_sel_hi:[1,0,1] neg_lo:[1,0,0] neg_hi:[1,0,0]
	v_pk_add_f32 v[94:95], v[82:83], v[88:89] neg_lo:[0,1] neg_hi:[0,1]
	v_pk_add_f32 v[52:53], v[78:79], v[44:45]
	v_mul_f32_e32 v44, 0.5, v37
	v_pk_add_f32 v[40:41], v[40:41], v[48:49]
	v_mov_b32_e32 v37, v50
	v_pk_fma_f32 v[96:97], v[94:95], s[2:3], v[92:93] op_sel:[1,0,0] op_sel_hi:[0,0,1]
	v_pk_fma_f32 v[92:93], v[94:95], s[2:3], v[92:93] op_sel:[1,0,0] op_sel_hi:[0,0,1] neg_lo:[1,0,0] neg_hi:[1,0,0]
	v_pk_add_f32 v[98:99], v[84:85], v[86:87] neg_lo:[0,1] neg_hi:[0,1]
	v_pk_add_f32 v[40:41], v[40:41], v[54:55]
	v_pk_add_f32 v[50:51], v[36:37], v[78:79]
	v_pk_fma_f32 v[92:93], v[98:99], s[10:11], v[92:93] op_sel:[1,0,0] op_sel_hi:[0,0,1] neg_lo:[1,0,0] neg_hi:[1,0,0]
	v_pk_fma_f32 v[96:97], v[98:99], s[10:11], v[96:97] op_sel:[1,0,0] op_sel_hi:[0,0,1]
	v_mov_b32_e32 v47, v80
	v_mov_b32_e32 v41, v51
	;; [unrolled: 1-line block ×5, first 2 shown]
	v_pk_add_f32 v[96:97], v[82:83], v[88:89]
	v_pk_add_f32 v[50:51], v[40:41], v[46:47]
	;; [unrolled: 1-line block ×3, first 2 shown]
	v_pk_fma_f32 v[34:35], v[96:97], 0.5, v[34:35] op_sel_hi:[1,0,1] neg_lo:[1,0,0] neg_hi:[1,0,0]
	v_pk_add_f32 v[40:41], v[40:41], v[84:85]
	v_pk_fma_f32 v[96:97], v[98:99], s[2:3], v[34:35] op_sel:[1,0,0] op_sel_hi:[0,0,1] neg_lo:[1,0,0] neg_hi:[1,0,0]
	v_pk_fma_f32 v[34:35], v[98:99], s[2:3], v[34:35] op_sel:[1,0,0] op_sel_hi:[0,0,1]
	v_pk_add_f32 v[102:103], v[82:83], v[84:85] neg_lo:[0,1] neg_hi:[0,1]
	v_pk_fma_f32 v[34:35], v[94:95], s[10:11], v[34:35] op_sel:[1,0,0] op_sel_hi:[0,0,1] neg_lo:[1,0,0] neg_hi:[1,0,0]
	v_pk_fma_f32 v[94:95], v[94:95], s[10:11], v[96:97] op_sel:[1,0,0] op_sel_hi:[0,0,1]
	v_pk_add_f32 v[82:83], v[84:85], v[82:83] neg_lo:[0,1] neg_hi:[0,1]
	v_pk_add_f32 v[84:85], v[86:87], v[88:89] neg_lo:[0,1] neg_hi:[0,1]
	v_pk_add_f32 v[90:91], v[48:49], v[54:55]
	v_mov_b32_e32 v96, v94
	v_mov_b32_e32 v97, v35
	v_pk_add_f32 v[82:83], v[82:83], v[84:85]
	v_mov_b32_e32 v35, v95
	v_pk_fma_f32 v[84:85], v[82:83], s[14:15], v[96:97] op_sel_hi:[1,0,1]
	v_pk_fma_f32 v[34:35], v[82:83], s[14:15], v[34:35] op_sel_hi:[1,0,1]
	v_mov_b32_e32 v53, v90
	v_mov_b32_e32 v37, v76
	v_mov_b32_e32 v82, v77
	v_mov_b32_e32 v83, v42
	v_pk_fma_f32 v[52:53], v[52:53], 0.5, v[36:37] op_sel_hi:[1,0,1] neg_lo:[1,0,0] neg_hi:[1,0,0]
	v_pk_add_f32 v[82:83], v[82:83], v[46:47] neg_lo:[0,1] neg_hi:[0,1]
	v_mov_b32_e32 v49, v78
	v_mov_b32_e32 v55, v79
	;; [unrolled: 1-line block ×8, first 2 shown]
	v_pk_add_f32 v[40:41], v[40:41], v[86:87]
	v_pk_add_f32 v[104:105], v[88:89], v[86:87] neg_lo:[0,1] neg_hi:[0,1]
	v_pk_fma_f32 v[86:87], v[82:83], s[2:3], v[52:53] op_sel_hi:[1,0,1]
	v_pk_add_f32 v[90:91], v[48:49], v[54:55] neg_lo:[0,1] neg_hi:[0,1]
	v_pk_add_f32 v[36:37], v[36:37], v[44:45] neg_lo:[0,1] neg_hi:[0,1]
	v_pk_fma_f32 v[52:53], v[82:83], s[2:3], v[52:53] op_sel_hi:[1,0,1] neg_lo:[1,0,0] neg_hi:[1,0,0]
	v_pk_add_f32 v[48:49], v[42:43], v[76:77] neg_lo:[0,1] neg_hi:[0,1]
	v_pk_add_f32 v[54:55], v[80:81], v[46:47] neg_lo:[0,1] neg_hi:[0,1]
	v_pk_fma_f32 v[44:45], v[90:91], s[2:3], v[36:37] op_sel_hi:[1,0,1] neg_lo:[1,0,0] neg_hi:[1,0,0]
	v_pk_fma_f32 v[52:53], v[90:91], s[10:11], v[52:53] op_sel_hi:[1,0,1] neg_lo:[1,0,0] neg_hi:[1,0,0]
	v_pk_add_f32 v[48:49], v[48:49], v[54:55]
	v_pk_fma_f32 v[54:55], v[90:91], s[10:11], v[86:87] op_sel_hi:[1,0,1]
	v_pk_fma_f32 v[36:37], v[90:91], s[2:3], v[36:37] op_sel_hi:[1,0,1]
	v_mov_b32_e32 v78, v52
	v_mov_b32_e32 v79, v55
	v_pk_fma_f32 v[44:45], v[82:83], s[10:11], v[44:45] op_sel_hi:[1,0,1]
	v_pk_fma_f32 v[36:37], v[82:83], s[10:11], v[36:37] op_sel_hi:[1,0,1] neg_lo:[1,0,0] neg_hi:[1,0,0]
	v_pk_add_f32 v[42:43], v[76:77], v[42:43] neg_lo:[0,1] neg_hi:[0,1]
	v_pk_add_f32 v[46:47], v[46:47], v[80:81] neg_lo:[0,1] neg_hi:[0,1]
	v_pk_fma_f32 v[78:79], v[48:49], s[14:15], v[78:79] op_sel_hi:[1,0,1]
	v_mov_b32_e32 v55, v53
	v_mov_b32_e32 v52, v36
	;; [unrolled: 1-line block ×3, first 2 shown]
	v_pk_add_f32 v[42:43], v[42:43], v[46:47]
	v_mov_b32_e32 v45, v37
	v_pk_fma_f32 v[46:47], v[42:43], s[14:15], v[52:53] op_sel_hi:[1,0,1]
	v_pk_add_f32 v[52:53], v[40:41], v[88:89]
	v_pk_mul_f32 v[40:41], v[78:79], s[10:11] op_sel_hi:[1,0]
	v_pk_fma_f32 v[36:37], v[42:43], s[14:15], v[44:45] op_sel_hi:[1,0,1]
	v_pk_fma_f32 v[42:43], v[78:79], s[18:19], v[40:41] op_sel:[0,0,1] op_sel_hi:[1,0,0]
	v_pk_fma_f32 v[48:49], v[48:49], s[14:15], v[54:55] op_sel_hi:[1,0,1]
	v_mov_b32_e32 v54, v43
	v_pk_mul_f32 v[42:43], v[46:47], s[2:3] op_sel_hi:[1,0]
	v_pk_add_f32 v[102:103], v[102:103], v[104:105]
	v_pk_fma_f32 v[44:45], v[46:47], s[14:15], v[42:43] op_sel:[0,0,1] op_sel_hi:[1,0,0]
	v_pk_fma_f32 v[40:41], v[78:79], s[18:19], v[40:41] op_sel:[0,0,1] op_sel_hi:[1,0,0] neg_lo:[0,0,1] neg_hi:[0,0,1]
	v_pk_fma_f32 v[42:43], v[46:47], s[14:15], v[42:43] op_sel:[0,0,1] op_sel_hi:[1,0,0] neg_lo:[0,0,1] neg_hi:[0,0,1]
	v_mov_b32_e32 v78, v45
	v_pk_mul_f32 v[44:45], v[36:37], s[14:15] op_sel_hi:[1,0]
	v_pk_mul_f32 v[46:47], v[48:49], s[18:19] op_sel_hi:[1,0]
	v_pk_fma_f32 v[100:101], v[102:103], s[14:15], v[100:101] op_sel_hi:[1,0,1]
	v_pk_fma_f32 v[92:93], v[102:103], s[14:15], v[92:93] op_sel_hi:[1,0,1]
	v_mov_b32_e32 v55, v40
	v_pk_fma_f32 v[36:37], v[36:37], s[2:3], v[44:45] op_sel:[0,0,1] op_sel_hi:[1,1,0] neg_lo:[0,0,1] neg_hi:[0,0,1]
	v_pk_fma_f32 v[80:81], v[48:49], s[10:11], v[46:47] op_sel:[0,0,1] op_sel_hi:[1,1,0] neg_lo:[0,0,1] neg_hi:[0,0,1]
	v_pk_add_f32 v[76:77], v[52:53], v[50:51]
	v_pk_add_f32 v[40:41], v[100:101], v[54:55]
	v_mov_b32_e32 v79, v42
	v_pk_add_f32 v[44:45], v[34:35], v[36:37]
	v_pk_add_f32 v[46:47], v[92:93], v[80:81]
	v_pk_add_f32 v[48:49], v[52:53], v[50:51] neg_lo:[0,1] neg_hi:[0,1]
	v_pk_add_f32 v[50:51], v[100:101], v[54:55] neg_lo:[0,1] neg_hi:[0,1]
	;; [unrolled: 1-line block ×3, first 2 shown]
	v_add_u32_e32 v34, 0x400, v250
	v_pk_add_f32 v[42:43], v[84:85], v[78:79]
	v_pk_add_f32 v[52:53], v[84:85], v[78:79] neg_lo:[0,1] neg_hi:[0,1]
	v_pk_add_f32 v[36:37], v[92:93], v[80:81] neg_lo:[0,1] neg_hi:[0,1]
	ds_write_b64 v250, v[76:77]
	ds_write2_b64 v250, v[40:41], v[42:43] offset0:68 offset1:136
	ds_write2_b64 v34, v[44:45], v[46:47] offset0:76 offset1:144
	v_add_u32_e32 v34, 0x800, v250
	v_add_u32_e32 v35, 0xc00, v250
	ds_write2_b64 v34, v[48:49], v[50:51] offset0:84 offset1:152
	ds_write2_b64 v35, v[52:53], v[54:55] offset0:92 offset1:160
	ds_write_b64 v250, v[36:37] offset:4896
	s_waitcnt lgkmcnt(0)
	s_barrier
	s_and_saveexec_b64 s[10:11], vcc
	s_cbranch_execz .LBB0_13
; %bb.12:
	s_add_u32 s14, s8, 0x1540
	s_addc_u32 s15, s9, 0
	global_load_dwordx2 v[78:79], v58, s[14:15]
	global_load_dwordx2 v[106:107], v58, s[14:15] offset:320
	global_load_dwordx2 v[108:109], v58, s[14:15] offset:640
	;; [unrolled: 1-line block ×12, first 2 shown]
	v_mov_b32_e32 v147, v59
	v_mov_b32_e32 v59, 0
	v_lshl_add_u64 v[80:81], s[14:15], 0, v[58:59]
	v_add_co_u32_e64 v80, s[2:3], s16, v80
	v_or_b32_e32 v35, 0x1400, v58
	s_nop 0
	v_addc_co_u32_e64 v81, s[2:3], 0, v81, s[2:3]
	global_load_dwordx2 v[130:131], v[80:81], off offset:64
	global_load_dwordx2 v[132:133], v[80:81], off offset:384
	;; [unrolled: 1-line block ×3, first 2 shown]
	global_load_dwordx2 v[136:137], v35, s[14:15]
	ds_read_b64 v[82:83], v250
	v_add_u32_e32 v57, 0x1000, v250
	s_waitcnt vmcnt(16) lgkmcnt(0)
	v_mul_f32_e32 v35, v83, v79
	v_mul_f32_e32 v81, v82, v79
	v_fma_f32 v80, v82, v78, -v35
	v_fmac_f32_e32 v81, v83, v78
	ds_write_b64 v250, v[80:81]
	ds_read2_b64 v[78:81], v250 offset0:40 offset1:80
	ds_read2_b64 v[82:85], v250 offset0:120 offset1:160
	;; [unrolled: 1-line block ×7, first 2 shown]
	s_waitcnt vmcnt(15) lgkmcnt(6)
	v_mul_f32_e32 v35, v79, v107
	v_mul_f32_e32 v139, v78, v107
	s_waitcnt vmcnt(14)
	v_mul_f32_e32 v59, v81, v109
	v_mul_f32_e32 v107, v80, v109
	s_waitcnt vmcnt(13) lgkmcnt(5)
	v_mul_f32_e32 v60, v83, v111
	v_mul_f32_e32 v109, v82, v111
	s_waitcnt vmcnt(12)
	v_mul_f32_e32 v61, v85, v113
	v_mul_f32_e32 v111, v84, v113
	;; [unrolled: 6-line block ×6, first 2 shown]
	v_fma_f32 v138, v78, v106, -v35
	v_fmac_f32_e32 v139, v79, v106
	v_fma_f32 v106, v80, v108, -v59
	v_fmac_f32_e32 v107, v81, v108
	;; [unrolled: 2-line block ×12, first 2 shown]
	ds_write2_b64 v250, v[138:139], v[106:107] offset0:40 offset1:80
	ds_write2_b64 v250, v[108:109], v[110:111] offset0:120 offset1:160
	;; [unrolled: 1-line block ×6, first 2 shown]
	ds_read2_b64 v[78:81], v57 offset0:88 offset1:128
	s_waitcnt vmcnt(3) lgkmcnt(7)
	v_mul_f32_e32 v34, v103, v131
	v_mul_f32_e32 v35, v102, v131
	s_waitcnt vmcnt(2)
	v_mul_f32_e32 v59, v105, v133
	v_mul_f32_e32 v83, v104, v133
	v_fma_f32 v34, v102, v130, -v34
	v_fmac_f32_e32 v35, v103, v130
	v_fma_f32 v82, v104, v132, -v59
	v_fmac_f32_e32 v83, v105, v132
	ds_write2_b64 v57, v[34:35], v[82:83] offset0:8 offset1:48
	s_waitcnt vmcnt(1) lgkmcnt(1)
	v_mul_f32_e32 v35, v78, v135
	v_mul_f32_e32 v34, v79, v135
	v_fmac_f32_e32 v35, v79, v134
	s_waitcnt vmcnt(0)
	v_mul_f32_e32 v59, v81, v137
	v_mul_f32_e32 v79, v80, v137
	v_fma_f32 v34, v78, v134, -v34
	v_fma_f32 v78, v80, v136, -v59
	v_mov_b32_e32 v59, v147
	v_fmac_f32_e32 v79, v81, v136
	ds_write2_b64 v57, v[34:35], v[78:79] offset0:88 offset1:128
.LBB0_13:
	s_or_b64 exec, exec, s[10:11]
	s_waitcnt lgkmcnt(0)
	s_barrier
	s_and_saveexec_b64 s[2:3], vcc
	s_cbranch_execz .LBB0_15
; %bb.14:
	ds_read_b64 v[76:77], v250
	ds_read2_b64 v[40:43], v250 offset0:40 offset1:80
	ds_read2_b64 v[44:47], v250 offset0:120 offset1:160
	;; [unrolled: 1-line block ×3, first 2 shown]
	v_add_u32_e32 v36, 0x800, v250
	v_add_u32_e32 v32, 0x1000, v250
	ds_read2_b64 v[28:31], v32 offset0:88 offset1:128
	ds_read2_b64 v[72:75], v32 offset0:8 offset1:48
	;; [unrolled: 1-line block ×5, first 2 shown]
	s_waitcnt lgkmcnt(3)
	v_mov_b64_e32 v[70:71], v[74:75]
	s_waitcnt lgkmcnt(1)
	v_mov_b64_e32 v[74:75], v[34:35]
.LBB0_15:
	s_or_b64 exec, exec, s[2:3]
	v_pk_add_f32 v[124:125], v[30:31], v[40:41]
	v_pk_add_f32 v[128:129], v[40:41], v[30:31] neg_lo:[0,1] neg_hi:[0,1]
	v_pk_add_f32 v[78:79], v[42:43], v[28:29] neg_lo:[0,1] neg_hi:[0,1]
	v_pk_add_f32 v[122:123], v[42:43], v[28:29]
	s_mov_b32 s24, 0xbf4c4adb
	v_mov_b32_e32 v34, v122
	v_mov_b32_e32 v35, v78
	;; [unrolled: 1-line block ×3, first 2 shown]
	v_pk_add_f32 v[78:79], v[44:45], v[70:71] neg_lo:[0,1] neg_hi:[0,1]
	v_pk_add_f32 v[120:121], v[44:45], v[70:71]
	v_mov_b32_e32 v182, v129
	v_mov_b32_e32 v183, v125
	s_mov_b32 s25, 0xbf1a4643
	s_mov_b32 s48, 0x3f763a35
	v_mov_b32_e32 v80, v120
	v_mov_b32_e32 v81, v78
	;; [unrolled: 1-line block ×3, first 2 shown]
	v_pk_add_f32 v[78:79], v[46:47], v[72:73] neg_lo:[0,1] neg_hi:[0,1]
	v_pk_add_f32 v[118:119], v[46:47], v[72:73]
	v_pk_mul_f32 v[60:61], v[182:183], s[24:25]
	v_mov_b32_e32 v96, v124
	v_mov_b32_e32 v97, v128
	s_mov_b32 s2, s25
	s_mov_b32 s3, s24
	;; [unrolled: 1-line block ×4, first 2 shown]
	v_mov_b32_e32 v84, v118
	v_mov_b32_e32 v85, v78
	;; [unrolled: 1-line block ×3, first 2 shown]
	v_pk_fma_f32 v[78:79], v[96:97], s[2:3], v[60:61] neg_lo:[0,0,1] neg_hi:[0,0,1]
	v_pk_fma_f32 v[92:93], v[96:97], s[2:3], v[60:61]
	v_pk_mul_f32 v[94:95], v[122:123], s[48:49]
	s_mov_b32 s14, s49
	s_mov_b32 s15, s48
	;; [unrolled: 1-line block ×3, first 2 shown]
	v_mov_b32_e32 v79, v93
	v_pk_fma_f32 v[82:83], v[34:35], s[14:15], v[94:95] neg_lo:[0,0,1] neg_hi:[0,0,1]
	v_pk_fma_f32 v[102:103], v[34:35], s[14:15], v[94:95]
	s_mov_b32 s18, s23
	s_mov_b32 s19, s22
	v_pk_add_f32 v[78:79], v[76:77], v[78:79]
	v_mov_b32_e32 v83, v103
	v_pk_mul_f32 v[106:107], v[120:121], s[18:19]
	s_mov_b32 s10, 0xbf59a7d5
	s_mov_b32 s11, 0xbf06c442
	v_pk_add_f32 v[78:79], v[82:83], v[78:79]
	v_pk_fma_f32 v[82:83], v[80:81], s[22:23], v[106:107] neg_lo:[0,0,1] neg_hi:[0,0,1]
	v_pk_fma_f32 v[114:115], v[80:81], s[22:23], v[106:107]
	s_mov_b32 s20, s11
	s_mov_b32 s21, s10
	;; [unrolled: 1-line block ×3, first 2 shown]
	v_pk_add_f32 v[88:89], v[48:49], v[74:75] neg_lo:[0,1] neg_hi:[0,1]
	v_pk_add_f32 v[90:91], v[48:49], v[74:75]
	v_mov_b32_e32 v83, v115
	v_pk_mul_f32 v[112:113], v[118:119], s[20:21]
	s_mov_b32 s27, 0x3f7ee86f
	v_mov_b32_e32 v126, v89
	v_mov_b32_e32 v127, v91
	v_pk_add_f32 v[78:79], v[82:83], v[78:79]
	v_pk_fma_f32 v[82:83], v[84:85], s[10:11], v[112:113] neg_lo:[0,0,1] neg_hi:[0,0,1]
	v_pk_fma_f32 v[132:133], v[84:85], s[10:11], v[112:113]
	s_mov_b32 s16, s27
	s_mov_b32 s17, s26
	v_mov_b32_e32 v86, v90
	v_mov_b32_e32 v87, v88
	v_mov_b32_e32 v83, v133
	v_pk_mul_f32 v[62:63], v[126:127], s[16:17]
	v_pk_add_f32 v[78:79], v[82:83], v[78:79]
	v_pk_fma_f32 v[82:83], v[86:87], s[26:27], v[62:63] neg_lo:[0,0,1] neg_hi:[0,0,1]
	v_pk_fma_f32 v[136:137], v[86:87], s[26:27], v[62:63]
	s_mov_b32 s44, 0x3f2c7751
	v_pk_add_f32 v[116:117], v[50:51], v[32:33] neg_lo:[0,1] neg_hi:[0,1]
	v_mov_b32_e32 v83, v137
	s_mov_b32 s45, 0x3f3d2fb0
	s_mov_b32 s54, 0xbf2c7751
	v_pk_add_f32 v[110:111], v[32:33], v[50:51]
	v_pk_add_f32 v[78:79], v[82:83], v[78:79]
	s_mov_b32 s28, s45
	v_pk_mul_f32 v[82:83], v[116:117], s[54:55] op_sel_hi:[1,0]
	s_mov_b32 s42, 0xbe3c28d5
	v_pk_fma_f32 v[130:131], v[110:111], s[28:29], v[82:83] op_sel:[0,0,1] op_sel_hi:[1,0,0] neg_lo:[0,0,1] neg_hi:[0,0,1]
	v_pk_fma_f32 v[140:141], v[110:111], s[28:29], v[82:83] op_sel:[0,0,1] op_sel_hi:[1,0,0]
	s_waitcnt lgkmcnt(0)
	v_pk_add_f32 v[108:109], v[52:53], v[38:39] neg_lo:[0,1] neg_hi:[0,1]
	v_mov_b32_e32 v82, v130
	v_mov_b32_e32 v83, v141
	s_mov_b32 s43, 0xbf7ba420
	v_pk_add_f32 v[104:105], v[38:39], v[52:53]
	v_pk_add_f32 v[78:79], v[82:83], v[78:79]
	s_mov_b32 s30, s43
	v_pk_mul_f32 v[82:83], v[108:109], s[42:43] op_sel_hi:[1,0]
	s_mov_b32 s36, 0x3ee437d1
	v_pk_fma_f32 v[134:135], v[104:105], s[30:31], v[82:83] op_sel:[0,0,1] op_sel_hi:[1,0,0] neg_lo:[0,0,1] neg_hi:[0,0,1]
	v_pk_fma_f32 v[144:145], v[104:105], s[30:31], v[82:83] op_sel:[0,0,1] op_sel_hi:[1,0,0]
	s_mov_b32 s37, 0x3f65296c
	v_pk_add_f32 v[100:101], v[54:55], v[36:37] neg_lo:[0,1] neg_hi:[0,1]
	v_mov_b32_e32 v82, v134
	v_mov_b32_e32 v83, v145
	s_mov_b32 s34, s37
	v_pk_add_f32 v[98:99], v[36:37], v[54:55]
	v_pk_add_f32 v[78:79], v[82:83], v[78:79]
	v_pk_mul_f32 v[82:83], v[100:101], s[34:35] op_sel_hi:[1,0]
	v_pk_mul_f32 v[142:143], v[182:183], s[20:21]
	v_pk_fma_f32 v[138:139], v[98:99], s[36:37], v[82:83] op_sel:[0,0,1] op_sel_hi:[1,0,0] neg_lo:[0,0,1] neg_hi:[0,0,1]
	v_pk_fma_f32 v[150:151], v[98:99], s[36:37], v[82:83] op_sel:[0,0,1] op_sel_hi:[1,0,0]
	v_mov_b32_e32 v82, v138
	v_mov_b32_e32 v83, v151
	s_mov_b32 s16, s37
	s_mov_b32 s17, s36
	v_pk_add_f32 v[78:79], v[82:83], v[78:79]
	v_pk_fma_f32 v[82:83], v[96:97], s[10:11], v[142:143] neg_lo:[0,0,1] neg_hi:[0,0,1]
	v_pk_fma_f32 v[148:149], v[96:97], s[10:11], v[142:143]
	v_pk_mul_f32 v[154:155], v[122:123], s[16:17]
	s_mov_b32 s52, 0xbf7ee86f
	s_mov_b32 s53, s26
	v_mov_b32_e32 v83, v149
	v_pk_fma_f32 v[158:159], v[34:35], s[36:37], v[154:155] neg_lo:[0,0,1] neg_hi:[0,0,1]
	v_pk_fma_f32 v[156:157], v[34:35], s[36:37], v[154:155]
	v_pk_mul_f32 v[224:225], v[120:121], s[52:53]
	s_mov_b32 s16, s26
	s_mov_b32 s17, s52
	v_pk_add_f32 v[82:83], v[76:77], v[82:83]
	v_mov_b32_e32 v159, v157
	v_pk_fma_f32 v[162:163], v[80:81], s[16:17], v[224:225] neg_lo:[0,0,1] neg_hi:[0,0,1]
	v_pk_fma_f32 v[160:161], v[80:81], s[16:17], v[224:225]
	s_mov_b32 s47, 0x3f4c4adb
	v_pk_add_f32 v[82:83], v[158:159], v[82:83]
	v_mov_b32_e32 v163, v161
	s_mov_b32 s38, s47
	s_mov_b32 s39, s25
	v_pk_add_f32 v[82:83], v[162:163], v[82:83]
	v_pk_mul_f32 v[162:163], v[118:119], s[38:39]
	s_mov_b32 s46, s25
	v_pk_fma_f32 v[166:167], v[84:85], s[46:47], v[162:163] neg_lo:[0,0,1] neg_hi:[0,0,1]
	v_pk_fma_f32 v[164:165], v[84:85], s[46:47], v[162:163]
	v_pk_mul_f32 v[168:169], v[126:127], s[18:19]
	v_mov_b32_e32 v167, v165
	v_pk_add_f32 v[82:83], v[166:167], v[82:83]
	v_pk_fma_f32 v[170:171], v[86:87], s[22:23], v[168:169] neg_lo:[0,0,1] neg_hi:[0,0,1]
	v_pk_fma_f32 v[166:167], v[86:87], s[22:23], v[168:169]
	v_pk_mul_f32 v[172:173], v[116:117], s[42:43] op_sel_hi:[1,0]
	v_mov_b32_e32 v171, v167
	v_pk_add_f32 v[82:83], v[170:171], v[82:83]
	v_pk_fma_f32 v[170:171], v[110:111], s[30:31], v[172:173] op_sel:[0,0,1] op_sel_hi:[1,0,0] neg_lo:[0,0,1] neg_hi:[0,0,1]
	v_pk_fma_f32 v[172:173], v[110:111], s[30:31], v[172:173] op_sel:[0,0,1] op_sel_hi:[1,0,0]
	v_mov_b32_e32 v174, v170
	v_mov_b32_e32 v175, v173
	v_pk_mul_f32 v[176:177], v[108:109], s[44:45] op_sel_hi:[1,0]
	v_pk_add_f32 v[82:83], v[174:175], v[82:83]
	v_pk_fma_f32 v[174:175], v[104:105], s[28:29], v[176:177] op_sel:[0,0,1] op_sel_hi:[1,0,0] neg_lo:[0,0,1] neg_hi:[0,0,1]
	v_pk_fma_f32 v[176:177], v[104:105], s[28:29], v[176:177] op_sel:[0,0,1] op_sel_hi:[1,0,0]
	s_mov_b32 s50, 0xbf763a35
	v_mov_b32_e32 v178, v174
	v_mov_b32_e32 v179, v177
	s_mov_b32 s18, s49
	v_pk_mul_f32 v[180:181], v[100:101], s[50:51] op_sel_hi:[1,0]
	v_pk_mul_f32 v[192:193], v[108:109], s[50:51] op_sel_hi:[1,0]
	v_pk_add_f32 v[82:83], v[178:179], v[82:83]
	v_pk_fma_f32 v[178:179], v[98:99], s[18:19], v[180:181] op_sel:[0,0,1] op_sel_hi:[1,0,0] neg_lo:[0,0,1] neg_hi:[0,0,1]
	v_pk_fma_f32 v[180:181], v[98:99], s[18:19], v[180:181] op_sel:[0,0,1] op_sel_hi:[1,0,0]
	v_pk_fma_f32 v[194:195], v[104:105], s[18:19], v[192:193] op_sel:[0,0,1] op_sel_hi:[1,0,0]
	v_pk_fma_f32 v[192:193], v[104:105], s[18:19], v[192:193] op_sel:[0,0,1] op_sel_hi:[1,0,0] neg_lo:[0,0,1] neg_hi:[0,0,1]
	s_mov_b32 s18, s27
	v_pk_mul_f32 v[198:199], v[100:101], s[18:19] op_sel_hi:[1,0]
	s_mov_b32 s18, s43
	s_mov_b32 s19, s42
	v_pk_mul_f32 v[204:205], v[96:97], s[18:19]
	s_mov_b32 s56, 0x3eb8f4ab
	v_pk_fma_f32 v[206:207], v[182:183], s[42:43], v[204:205] neg_lo:[1,0,0] neg_hi:[1,0,0]
	v_pk_fma_f32 v[208:209], v[182:183], s[42:43], v[204:205]
	s_mov_b32 s57, s22
	v_pk_fma_f32 v[182:183], v[182:183], s[42:43], v[204:205] neg_lo:[0,0,1] neg_hi:[0,0,1]
	v_mov_b32_e32 v207, v209
	v_pk_mul_f32 v[210:211], v[122:123], s[56:57]
	s_mov_b32 s30, s22
	s_mov_b32 s31, s56
	v_mov_b32_e32 v209, v183
	v_pk_add_f32 v[182:183], v[76:77], v[208:209]
	v_pk_fma_f32 v[204:205], v[34:35], s[30:31], v[210:211]
	v_pk_fma_f32 v[208:209], v[34:35], s[30:31], v[210:211] neg_lo:[1,0,0] neg_hi:[1,0,0]
	v_pk_add_f32 v[206:207], v[76:77], v[206:207]
	v_mov_b32_e32 v208, v204
	v_pk_add_f32 v[182:183], v[208:209], v[182:183]
	v_pk_fma_f32 v[208:209], v[34:35], s[30:31], v[210:211] neg_lo:[0,0,1] neg_hi:[0,0,1]
	v_mov_b32_e32 v184, v178
	v_mov_b32_e32 v209, v205
	v_pk_add_f32 v[204:205], v[208:209], v[206:207]
	v_pk_mul_f32 v[206:207], v[120:121], s[20:21]
	v_mov_b32_e32 v185, v181
	v_pk_fma_f32 v[208:209], v[80:81], s[10:11], v[206:207]
	v_pk_fma_f32 v[210:211], v[80:81], s[10:11], v[206:207] neg_lo:[1,0,0] neg_hi:[1,0,0]
	v_pk_fma_f32 v[206:207], v[80:81], s[10:11], v[206:207] neg_lo:[0,0,1] neg_hi:[0,0,1]
	s_mov_b32 s28, s25
	v_pk_mul_f32 v[88:89], v[88:89], s[24:25] op_sel:[1,0] op_sel_hi:[0,0]
	v_mov_b32_e32 v207, v209
	v_pk_add_f32 v[82:83], v[184:185], v[82:83]
	v_pk_fma_f32 v[184:185], v[90:91], s[28:29], v[88:89] op_sel_hi:[1,0,1]
	v_pk_fma_f32 v[88:89], v[90:91], s[28:29], v[88:89] op_sel_hi:[1,0,1] neg_lo:[0,0,1] neg_hi:[0,0,1]
	v_pk_add_f32 v[204:205], v[206:207], v[204:205]
	v_pk_mul_f32 v[206:207], v[118:119], s[44:45]
	s_mov_b32 s28, s45
	s_mov_b32 s29, s44
	v_pk_fma_f32 v[212:213], v[84:85], s[28:29], v[206:207]
	v_pk_fma_f32 v[214:215], v[84:85], s[28:29], v[206:207] neg_lo:[1,0,0] neg_hi:[1,0,0]
	v_pk_fma_f32 v[206:207], v[84:85], s[28:29], v[206:207] neg_lo:[0,0,1] neg_hi:[0,0,1]
	v_mov_b32_e32 v209, v211
	v_pk_mul_f32 v[186:187], v[116:117], s[34:35] op_sel_hi:[1,0]
	v_mov_b32_e32 v207, v213
	v_pk_add_f32 v[182:183], v[208:209], v[182:183]
	v_mov_b32_e32 v213, v215
	v_mov_b32_e32 v90, v184
	;; [unrolled: 1-line block ×3, first 2 shown]
	v_pk_fma_f32 v[188:189], v[110:111], s[36:37], v[186:187] op_sel:[0,0,1] op_sel_hi:[1,0,0]
	v_pk_fma_f32 v[186:187], v[110:111], s[36:37], v[186:187] op_sel:[0,0,1] op_sel_hi:[1,0,0] neg_lo:[0,0,1] neg_hi:[0,0,1]
	v_pk_add_f32 v[204:205], v[206:207], v[204:205]
	v_pk_add_f32 v[182:183], v[212:213], v[182:183]
	v_mov_b32_e32 v89, v185
	v_mov_b32_e32 v190, v188
	;; [unrolled: 1-line block ×3, first 2 shown]
	v_pk_add_f32 v[90:91], v[90:91], v[182:183]
	v_pk_add_f32 v[88:89], v[88:89], v[204:205]
	v_mov_b32_e32 v187, v189
	v_mov_b32_e32 v196, v194
	v_mov_b32_e32 v197, v193
	v_pk_fma_f32 v[200:201], v[98:99], s[26:27], v[198:199] op_sel:[0,0,1] op_sel_hi:[1,0,0]
	v_pk_fma_f32 v[198:199], v[98:99], s[26:27], v[198:199] op_sel:[0,0,1] op_sel_hi:[1,0,0] neg_lo:[0,0,1] neg_hi:[0,0,1]
	v_pk_add_f32 v[90:91], v[190:191], v[90:91]
	v_pk_add_f32 v[88:89], v[186:187], v[88:89]
	v_mov_b32_e32 v193, v195
	v_mov_b32_e32 v202, v200
	v_mov_b32_e32 v203, v199
	v_pk_add_f32 v[90:91], v[196:197], v[90:91]
	v_pk_add_f32 v[182:183], v[192:193], v[88:89]
	v_mov_b32_e32 v199, v201
	v_pk_add_f32 v[88:89], v[202:203], v[90:91]
	v_pk_add_f32 v[90:91], v[198:199], v[182:183]
	s_barrier
	s_and_saveexec_b64 s[20:21], vcc
	s_cbranch_execz .LBB0_17
; %bb.16:
	v_pk_add_f32 v[40:41], v[40:41], v[76:77]
	s_mov_b32 s58, s23
	v_pk_add_f32 v[40:41], v[42:43], v[40:41]
	v_pk_mul_f32 v[182:183], v[128:129], s[58:59] op_sel_hi:[1,0]
	v_pk_add_f32 v[40:41], v[44:45], v[40:41]
	s_mov_b32 s55, s45
	v_pk_add_f32 v[40:41], v[46:47], v[40:41]
	s_mov_b32 s39, 0xbf65296c
	;; [unrolled: 2-line block ×10, first 2 shown]
	v_pk_add_f32 v[32:33], v[72:73], v[32:33]
	v_pk_mul_f32 v[214:215], v[126:127], s[50:51]
	v_pk_add_f32 v[32:33], v[70:71], v[32:33]
	v_pk_fma_f32 v[52:53], v[86:87], s[40:41], v[214:215] neg_lo:[1,0,0] neg_hi:[1,0,0]
	v_pk_add_f32 v[28:29], v[28:29], v[32:33]
	v_pk_fma_f32 v[32:33], v[124:125], s[22:23], v[182:183] op_sel:[0,0,1] op_sel_hi:[1,0,0]
	v_pk_add_f32 v[184:185], v[30:31], v[28:29]
	v_pk_fma_f32 v[30:31], v[124:125], s[22:23], v[182:183] op_sel:[0,0,1] op_sel_hi:[1,0,0] neg_lo:[0,0,1] neg_hi:[0,0,1]
	v_mov_b32_e32 v57, v33
	v_mov_b32_e32 v33, v31
	v_pk_add_f32 v[38:39], v[76:77], v[32:33]
	v_pk_mul_f32 v[32:33], v[122:123], s[54:55]
	s_mov_b32 s60, s25
	v_accvgpr_write_b32 a10, v32
	v_pk_fma_f32 v[28:29], v[34:35], s[34:35], v[32:33]
	v_pk_fma_f32 v[40:41], v[34:35], s[34:35], v[32:33] neg_lo:[1,0,0] neg_hi:[1,0,0]
	v_accvgpr_write_b32 a11, v33
	v_pk_mul_f32 v[32:33], v[120:121], s[62:63]
	v_mov_b32_e32 v40, v28
	v_accvgpr_write_b32 a16, v32
	v_accvgpr_write_b32 a9, v29
	v_pk_fma_f32 v[28:29], v[80:81], s[38:39], v[32:33]
	v_pk_fma_f32 v[44:45], v[80:81], s[38:39], v[32:33] neg_lo:[1,0,0] neg_hi:[1,0,0]
	v_accvgpr_write_b32 a17, v33
	v_pk_mul_f32 v[32:33], v[118:119], s[52:53]
	v_pk_add_f32 v[42:43], v[40:41], v[38:39]
	v_mov_b32_e32 v44, v28
	v_accvgpr_write_b32 a13, v29
	v_pk_fma_f32 v[28:29], v[84:85], s[16:17], v[32:33]
	v_pk_fma_f32 v[48:49], v[84:85], s[16:17], v[32:33] neg_lo:[1,0,0] neg_hi:[1,0,0]
	v_pk_add_f32 v[46:47], v[44:45], v[42:43]
	v_mov_b32_e32 v48, v28
	v_accvgpr_write_b32 a15, v29
	v_pk_fma_f32 v[28:29], v[86:87], s[40:41], v[214:215]
	v_pk_add_f32 v[50:51], v[48:49], v[46:47]
	v_mov_b32_e32 v52, v28
	v_pk_add_f32 v[54:55], v[52:53], v[50:51]
	v_pk_mul_f32 v[52:53], v[116:117], s[24:25] op_sel_hi:[1,0]
	s_mov_b32 s64, s11
	v_pk_fma_f32 v[70:71], v[110:111], s[60:61], v[52:53] op_sel:[0,0,1] op_sel_hi:[1,0,0]
	v_pk_fma_f32 v[52:53], v[110:111], s[60:61], v[52:53] op_sel:[0,0,1] op_sel_hi:[1,0,0] neg_lo:[0,0,1] neg_hi:[0,0,1]
	v_accvgpr_write_b32 a23, v71
	v_mov_b32_e32 v71, v53
	v_pk_add_f32 v[72:73], v[70:71], v[54:55]
	v_pk_mul_f32 v[70:71], v[108:109], s[64:65] op_sel_hi:[1,0]
	s_mov_b32 s66, s43
	v_pk_fma_f32 v[74:75], v[104:105], s[10:11], v[70:71] op_sel:[0,0,1] op_sel_hi:[1,0,0]
	v_pk_fma_f32 v[70:71], v[104:105], s[10:11], v[70:71] op_sel:[0,0,1] op_sel_hi:[1,0,0] neg_lo:[0,0,1] neg_hi:[0,0,1]
	v_accvgpr_write_b32 a25, v75
	v_mov_b32_e32 v75, v71
	v_pk_add_f32 v[182:183], v[74:75], v[72:73]
	v_pk_mul_f32 v[74:75], v[100:101], s[42:43] op_sel_hi:[1,0]
	v_lshl_add_u32 v56, v56, 3, v59
	v_pk_fma_f32 v[72:73], v[98:99], s[66:67], v[74:75] op_sel:[0,0,1] op_sel_hi:[1,0,0]
	v_pk_fma_f32 v[74:75], v[98:99], s[66:67], v[74:75] op_sel:[0,0,1] op_sel_hi:[1,0,0] neg_lo:[0,0,1] neg_hi:[0,0,1]
	v_mov_b32_e32 v186, v72
	v_mov_b32_e32 v187, v75
	v_pk_add_f32 v[182:183], v[186:187], v[182:183]
	ds_write2_b64 v56, v[184:185], v[182:183] offset1:1
	s_mov_b32 s66, s45
	v_pk_mul_f32 v[184:185], v[128:129], s[54:55] op_sel_hi:[1,0]
	v_pk_mul_f32 v[188:189], v[122:123], s[52:53]
	v_pk_fma_f32 v[182:183], v[124:125], s[66:67], v[184:185] op_sel:[0,0,1] op_sel_hi:[1,0,0]
	v_pk_fma_f32 v[184:185], v[124:125], s[66:67], v[184:185] op_sel:[0,0,1] op_sel_hi:[1,0,0] neg_lo:[0,0,1] neg_hi:[0,0,1]
	v_mov_b32_e32 v186, v182
	v_mov_b32_e32 v187, v185
	v_pk_add_f32 v[190:191], v[76:77], v[186:187]
	v_pk_fma_f32 v[186:187], v[34:35], s[16:17], v[188:189]
	v_pk_fma_f32 v[192:193], v[34:35], s[16:17], v[188:189] neg_lo:[1,0,0] neg_hi:[1,0,0]
	v_pk_mul_f32 v[146:147], v[84:85], s[10:11]
	v_mov_b32_e32 v192, v186
	v_pk_add_f32 v[194:195], v[192:193], v[190:191]
	v_pk_mul_f32 v[192:193], v[120:121], s[24:25]
	v_accvgpr_write_b32 a28, v146
	v_pk_fma_f32 v[190:191], v[80:81], s[2:3], v[192:193]
	v_pk_fma_f32 v[196:197], v[80:81], s[2:3], v[192:193] neg_lo:[1,0,0] neg_hi:[1,0,0]
	v_accvgpr_write_b32 a29, v147
	v_mov_b32_e32 v196, v190
	v_pk_add_f32 v[198:199], v[196:197], v[194:195]
	v_pk_mul_f32 v[196:197], v[118:119], s[42:43]
	v_pk_mul_f32 v[146:147], v[96:97], s[10:11]
	v_pk_fma_f32 v[194:195], v[84:85], s[18:19], v[196:197]
	v_pk_fma_f32 v[200:201], v[84:85], s[18:19], v[196:197] neg_lo:[1,0,0] neg_hi:[1,0,0]
	s_mov_b32 s11, 0x3f06c442
	v_mov_b32_e32 v200, v194
	s_mov_b32 s68, s11
	s_mov_b32 s69, s10
	v_pk_add_f32 v[202:203], v[200:201], v[198:199]
	v_pk_mul_f32 v[200:201], v[126:127], s[68:69]
	s_mov_b32 s70, s49
	v_pk_fma_f32 v[198:199], v[86:87], s[10:11], v[200:201]
	v_pk_fma_f32 v[204:205], v[86:87], s[10:11], v[200:201] neg_lo:[1,0,0] neg_hi:[1,0,0]
	s_mov_b32 s54, s37
	v_mov_b32_e32 v204, v198
	v_pk_add_f32 v[206:207], v[204:205], v[202:203]
	v_pk_mul_f32 v[204:205], v[116:117], s[48:49] op_sel_hi:[1,0]
	v_pk_mul_f32 v[50:51], v[122:123], s[24:25]
	v_pk_fma_f32 v[202:203], v[110:111], s[70:71], v[204:205] op_sel:[0,0,1] op_sel_hi:[1,0,0]
	v_pk_fma_f32 v[204:205], v[110:111], s[70:71], v[204:205] op_sel:[0,0,1] op_sel_hi:[1,0,0] neg_lo:[0,0,1] neg_hi:[0,0,1]
	v_mov_b32_e32 v208, v202
	v_mov_b32_e32 v209, v205
	v_pk_add_f32 v[210:211], v[208:209], v[206:207]
	v_pk_mul_f32 v[208:209], v[108:109], s[54:55] op_sel_hi:[1,0]
	s_mov_b32 s54, s39
	v_pk_fma_f32 v[206:207], v[104:105], s[36:37], v[208:209] op_sel:[0,0,1] op_sel_hi:[1,0,0]
	v_pk_fma_f32 v[208:209], v[104:105], s[36:37], v[208:209] op_sel:[0,0,1] op_sel_hi:[1,0,0] neg_lo:[0,0,1] neg_hi:[0,0,1]
	v_mov_b32_e32 v212, v206
	v_mov_b32_e32 v213, v209
	v_pk_add_f32 v[218:219], v[212:213], v[210:211]
	v_pk_mul_f32 v[212:213], v[100:101], s[56:57] op_sel_hi:[1,0]
	v_pk_fma_f32 v[228:229], v[34:35], s[2:3], v[50:51] neg_lo:[1,0,0] neg_hi:[1,0,0]
	v_pk_fma_f32 v[210:211], v[98:99], s[22:23], v[212:213] op_sel:[0,0,1] op_sel_hi:[1,0,0]
	v_pk_fma_f32 v[212:213], v[98:99], s[22:23], v[212:213] op_sel:[0,0,1] op_sel_hi:[1,0,0] neg_lo:[0,0,1] neg_hi:[0,0,1]
	v_mov_b32_e32 v220, v210
	v_mov_b32_e32 v221, v213
	v_pk_add_f32 v[252:253], v[220:221], v[218:219]
	v_pk_mul_f32 v[220:221], v[128:129], s[54:55] op_sel_hi:[1,0]
	s_mov_b32 s55, 0x3e3c28d5
	v_pk_fma_f32 v[218:219], v[124:125], s[36:37], v[220:221] op_sel:[0,0,1] op_sel_hi:[1,0,0]
	v_pk_fma_f32 v[220:221], v[124:125], s[36:37], v[220:221] op_sel:[0,0,1] op_sel_hi:[1,0,0] neg_lo:[0,0,1] neg_hi:[0,0,1]
	v_mov_b32_e32 v222, v218
	v_mov_b32_e32 v223, v221
	v_pk_add_f32 v[226:227], v[76:77], v[222:223]
	v_pk_fma_f32 v[222:223], v[34:35], s[2:3], v[50:51]
	s_mov_b32 s72, s55
	v_mov_b32_e32 v228, v222
	s_mov_b32 s73, s43
	v_pk_add_f32 v[230:231], v[228:229], v[226:227]
	s_mov_b32 s54, s43
	v_pk_mul_f32 v[228:229], v[120:121], s[72:73]
	v_accvgpr_write_b32 a18, v32
	v_pk_fma_f32 v[226:227], v[80:81], s[54:55], v[228:229]
	v_pk_fma_f32 v[232:233], v[80:81], s[54:55], v[228:229] neg_lo:[1,0,0] neg_hi:[1,0,0]
	v_accvgpr_write_b32 a21, v29
	v_mov_b32_e32 v232, v226
	v_pk_add_f32 v[234:235], v[232:233], v[230:231]
	v_pk_mul_f32 v[232:233], v[118:119], s[48:49]
	v_pk_mul_f32 v[28:29], v[122:123], s[42:43]
	v_pk_fma_f32 v[230:231], v[84:85], s[14:15], v[232:233]
	v_pk_fma_f32 v[236:237], v[84:85], s[14:15], v[232:233] neg_lo:[1,0,0] neg_hi:[1,0,0]
	v_accvgpr_write_b32 a19, v33
	v_mov_b32_e32 v236, v230
	v_pk_add_f32 v[238:239], v[236:237], v[234:235]
	v_pk_mul_f32 v[236:237], v[126:127], s[44:45]
	v_pk_fma_f32 v[48:49], v[34:35], s[18:19], v[28:29]
	v_pk_fma_f32 v[234:235], v[86:87], s[28:29], v[236:237]
	v_pk_fma_f32 v[240:241], v[86:87], s[28:29], v[236:237] neg_lo:[1,0,0] neg_hi:[1,0,0]
	v_pk_fma_f32 v[32:33], v[34:35], s[18:19], v[28:29] neg_lo:[1,0,0] neg_hi:[1,0,0]
	v_mov_b32_e32 v240, v234
	v_pk_add_f32 v[242:243], v[240:241], v[238:239]
	v_pk_mul_f32 v[240:241], v[116:117], s[58:59] op_sel_hi:[1,0]
	v_mov_b32_e32 v32, v48
	v_pk_fma_f32 v[238:239], v[110:111], s[22:23], v[240:241] op_sel:[0,0,1] op_sel_hi:[1,0,0]
	v_pk_fma_f32 v[240:241], v[110:111], s[22:23], v[240:241] op_sel:[0,0,1] op_sel_hi:[1,0,0] neg_lo:[0,0,1] neg_hi:[0,0,1]
	v_mov_b32_e32 v244, v238
	v_mov_b32_e32 v245, v241
	v_pk_add_f32 v[246:247], v[244:245], v[242:243]
	v_pk_mul_f32 v[244:245], v[108:109], s[52:53] op_sel_hi:[1,0]
	v_mov_b32_e32 v151, v139
	v_pk_fma_f32 v[242:243], v[104:105], s[26:27], v[244:245] op_sel:[0,0,1] op_sel_hi:[1,0,0]
	v_pk_fma_f32 v[244:245], v[104:105], s[26:27], v[244:245] op_sel:[0,0,1] op_sel_hi:[1,0,0] neg_lo:[0,0,1] neg_hi:[0,0,1]
	v_mov_b32_e32 v248, v242
	v_mov_b32_e32 v249, v245
	v_pk_add_f32 v[254:255], v[248:249], v[246:247]
	v_pk_mul_f32 v[248:249], v[100:101], s[64:65] op_sel_hi:[1,0]
	v_accvgpr_write_b32 a26, v146
	v_pk_fma_f32 v[54:55], v[98:99], s[10:11], v[248:249] op_sel:[0,0,1] op_sel_hi:[1,0,0]
	v_pk_fma_f32 v[248:249], v[98:99], s[10:11], v[248:249] op_sel:[0,0,1] op_sel_hi:[1,0,0] neg_lo:[0,0,1] neg_hi:[0,0,1]
	v_mov_b32_e32 v246, v54
	v_mov_b32_e32 v247, v249
	v_pk_add_f32 v[246:247], v[246:247], v[254:255]
	ds_write2_b64 v56, v[252:253], v[246:247] offset0:2 offset1:3
	v_pk_mul_f32 v[246:247], v[128:129], s[52:53] op_sel_hi:[1,0]
	v_accvgpr_write_b32 a27, v147
	v_pk_fma_f32 v[252:253], v[124:125], s[26:27], v[246:247] op_sel:[0,0,1] op_sel_hi:[1,0,0]
	v_pk_fma_f32 v[246:247], v[124:125], s[26:27], v[246:247] op_sel:[0,0,1] op_sel_hi:[1,0,0] neg_lo:[0,0,1] neg_hi:[0,0,1]
	v_mov_b32_e32 v254, v252
	v_mov_b32_e32 v255, v247
	v_pk_add_f32 v[254:255], v[76:77], v[254:255]
	v_mov_b32_e32 v173, v171
	v_pk_add_f32 v[32:33], v[32:33], v[254:255]
	v_pk_mul_f32 v[254:255], v[120:121], s[48:49]
	v_mov_b32_e32 v177, v175
	v_pk_fma_f32 v[46:47], v[80:81], s[14:15], v[254:255]
	v_pk_fma_f32 v[138:139], v[80:81], s[14:15], v[254:255] neg_lo:[1,0,0] neg_hi:[1,0,0]
	v_mov_b32_e32 v48, v217
	v_mov_b32_e32 v138, v46
	v_pk_add_f32 v[32:33], v[138:139], v[32:33]
	v_pk_mul_f32 v[138:139], v[118:119], s[56:57]
	v_mov_b32_e32 v46, v216
	v_pk_fma_f32 v[170:171], v[84:85], s[30:31], v[138:139]
	v_pk_fma_f32 v[146:147], v[84:85], s[30:31], v[138:139] neg_lo:[1,0,0] neg_hi:[1,0,0]
	v_mov_b32_e32 v181, v179
	v_mov_b32_e32 v146, v170
	v_pk_add_f32 v[32:33], v[146:147], v[32:33]
	v_pk_mul_f32 v[146:147], v[126:127], s[62:63]
	s_mov_b32 s48, s47
	v_pk_fma_f32 v[174:175], v[86:87], s[38:39], v[146:147]
	v_pk_fma_f32 v[216:217], v[86:87], s[38:39], v[146:147] neg_lo:[1,0,0] neg_hi:[1,0,0]
	v_mov_b64_e32 v[38:39], v[154:155]
	v_mov_b32_e32 v216, v174
	v_pk_add_f32 v[32:33], v[216:217], v[32:33]
	v_pk_mul_f32 v[216:217], v[116:117], s[64:65] op_sel_hi:[1,0]
	v_mov_b64_e32 v[154:155], v[94:95]
	v_pk_fma_f32 v[36:37], v[110:111], s[10:11], v[216:217] op_sel:[0,0,1] op_sel_hi:[1,0,0]
	v_pk_fma_f32 v[216:217], v[110:111], s[10:11], v[216:217] op_sel:[0,0,1] op_sel_hi:[1,0,0] neg_lo:[0,0,1] neg_hi:[0,0,1]
	v_mov_b32_e32 v178, v36
	v_mov_b32_e32 v179, v217
	v_pk_add_f32 v[32:33], v[178:179], v[32:33]
	v_pk_mul_f32 v[178:179], v[108:109], s[48:49] op_sel_hi:[1,0]
	v_mov_b64_e32 v[40:41], v[162:163]
	v_pk_fma_f32 v[44:45], v[104:105], s[60:61], v[178:179] op_sel:[0,0,1] op_sel_hi:[1,0,0]
	v_pk_fma_f32 v[178:179], v[104:105], s[60:61], v[178:179] op_sel:[0,0,1] op_sel_hi:[1,0,0] neg_lo:[0,0,1] neg_hi:[0,0,1]
	v_mov_b32_e32 v94, v44
	v_mov_b32_e32 v95, v179
	v_pk_add_f32 v[32:33], v[94:95], v[32:33]
	v_pk_mul_f32 v[94:95], v[100:101], s[44:45] op_sel_hi:[1,0]
	v_mov_b64_e32 v[162:163], v[62:63]
	v_pk_fma_f32 v[42:43], v[98:99], s[66:67], v[94:95] op_sel:[0,0,1] op_sel_hi:[1,0,0]
	v_pk_fma_f32 v[94:95], v[98:99], s[66:67], v[94:95] op_sel:[0,0,1] op_sel_hi:[1,0,0] neg_lo:[0,0,1] neg_hi:[0,0,1]
	v_mov_b64_e32 v[62:63], v[112:113]
	v_mov_b32_e32 v112, v42
	v_mov_b32_e32 v113, v95
	v_pk_add_f32 v[32:33], v[112:113], v[32:33]
	v_pk_mul_f32 v[112:113], v[128:129], s[50:51] op_sel_hi:[1,0]
	v_pk_mul_f32 v[122:123], v[122:123], s[68:69]
	v_pk_fma_f32 v[128:129], v[124:125], s[70:71], v[112:113] op_sel:[0,0,1] op_sel_hi:[1,0,0]
	v_pk_fma_f32 v[112:113], v[124:125], s[70:71], v[112:113] op_sel:[0,0,1] op_sel_hi:[1,0,0] neg_lo:[0,0,1] neg_hi:[0,0,1]
	v_mov_b32_e32 v124, v128
	v_mov_b32_e32 v125, v113
	v_pk_fma_f32 v[158:159], v[34:35], s[10:11], v[122:123]
	v_mov_b32_e32 v141, v131
	v_pk_fma_f32 v[130:131], v[34:35], s[10:11], v[122:123] neg_lo:[1,0,0] neg_hi:[1,0,0]
	v_pk_add_f32 v[124:125], v[76:77], v[124:125]
	v_mov_b32_e32 v130, v158
	v_pk_mul_f32 v[120:121], v[120:121], s[44:45]
	v_pk_add_f32 v[124:125], v[130:131], v[124:125]
	v_mov_b32_e32 v145, v135
	v_pk_fma_f32 v[134:135], v[80:81], s[28:29], v[120:121]
	v_pk_fma_f32 v[130:131], v[80:81], s[28:29], v[120:121] neg_lo:[1,0,0] neg_hi:[1,0,0]
	v_pk_mul_f32 v[118:119], v[118:119], s[62:63]
	v_mov_b32_e32 v130, v134
	v_accvgpr_write_b32 a4, v152
	v_pk_add_f32 v[124:125], v[130:131], v[124:125]
	v_accvgpr_write_b32 a5, v153
	v_pk_fma_f32 v[152:153], v[84:85], s[38:39], v[118:119]
	v_pk_fma_f32 v[130:131], v[84:85], s[38:39], v[118:119] neg_lo:[1,0,0] neg_hi:[1,0,0]
	v_pk_mul_f32 v[126:127], v[126:127], s[42:43]
	v_mov_b32_e32 v130, v152
	v_accvgpr_write_b32 a6, v78
	v_pk_add_f32 v[124:125], v[130:131], v[124:125]
	v_accvgpr_write_b32 a7, v79
	v_mov_b64_e32 v[78:79], v[168:169]
	v_pk_fma_f32 v[168:169], v[86:87], s[18:19], v[126:127]
	v_pk_fma_f32 v[130:131], v[86:87], s[18:19], v[126:127] neg_lo:[1,0,0] neg_hi:[1,0,0]
	s_mov_b32 s42, s27
	v_mov_b32_e32 v130, v168
	v_pk_mul_f32 v[116:117], v[116:117], s[42:43] op_sel_hi:[1,0]
	v_pk_add_f32 v[124:125], v[130:131], v[124:125]
	v_pk_fma_f32 v[130:131], v[110:111], s[26:27], v[116:117] op_sel:[0,0,1] op_sel_hi:[1,0,0]
	v_pk_fma_f32 v[110:111], v[110:111], s[26:27], v[116:117] op_sel:[0,0,1] op_sel_hi:[1,0,0] neg_lo:[0,0,1] neg_hi:[0,0,1]
	v_mov_b32_e32 v116, v130
	v_mov_b32_e32 v117, v111
	v_pk_mul_f32 v[108:109], v[108:109], s[58:59] op_sel_hi:[1,0]
	v_pk_add_f32 v[116:117], v[116:117], v[124:125]
	v_pk_fma_f32 v[124:125], v[104:105], s[22:23], v[108:109] op_sel:[0,0,1] op_sel_hi:[1,0,0]
	v_pk_fma_f32 v[104:105], v[104:105], s[22:23], v[108:109] op_sel:[0,0,1] op_sel_hi:[1,0,0] neg_lo:[0,0,1] neg_hi:[0,0,1]
	v_mov_b32_e32 v108, v124
	;; [unrolled: 6-line block ×3, first 2 shown]
	v_mov_b32_e32 v101, v99
	v_pk_add_f32 v[100:101], v[100:101], v[108:109]
	ds_write2_b64 v56, v[32:33], v[100:101] offset0:4 offset1:5
	v_pk_mul_f32 v[32:33], v[96:97], s[2:3]
	v_pk_mul_f32 v[96:97], v[34:35], s[14:15]
	v_pk_add_f32 v[32:33], v[60:61], v[32:33] neg_lo:[0,1] neg_hi:[0,1]
	v_pk_mul_f32 v[100:101], v[80:81], s[22:23]
	v_mov_b32_e32 v93, v33
	v_pk_add_f32 v[96:97], v[154:155], v[96:97] neg_lo:[0,1] neg_hi:[0,1]
	v_accvgpr_read_b32 v61, a29
	v_mov_b32_e32 v103, v97
	v_pk_add_f32 v[92:93], v[76:77], v[92:93]
	v_pk_add_f32 v[100:101], v[106:107], v[100:101] neg_lo:[0,1] neg_hi:[0,1]
	v_accvgpr_read_b32 v60, a28
	v_pk_mul_f32 v[32:33], v[86:87], s[26:27]
	v_pk_add_f32 v[92:93], v[102:103], v[92:93]
	v_mov_b32_e32 v115, v101
	v_pk_add_f32 v[100:101], v[62:63], v[60:61] neg_lo:[0,1] neg_hi:[0,1]
	v_pk_add_f32 v[92:93], v[114:115], v[92:93]
	v_mov_b32_e32 v133, v101
	v_pk_add_f32 v[32:33], v[162:163], v[32:33] neg_lo:[0,1] neg_hi:[0,1]
	v_accvgpr_read_b32 v61, a27
	v_pk_add_f32 v[92:93], v[132:133], v[92:93]
	v_mov_b32_e32 v137, v33
	v_accvgpr_read_b32 v60, a26
	v_pk_mul_f32 v[108:109], v[34:35], s[36:37]
	v_pk_add_f32 v[32:33], v[136:137], v[92:93]
	v_pk_add_f32 v[92:93], v[142:143], v[60:61] neg_lo:[0,1] neg_hi:[0,1]
	v_pk_add_f32 v[62:63], v[38:39], v[108:109] neg_lo:[0,1] neg_hi:[0,1]
	v_mov_b32_e32 v149, v93
	v_pk_mul_f32 v[96:97], v[80:81], s[16:17]
	v_pk_add_f32 v[92:93], v[76:77], v[148:149]
	v_mov_b32_e32 v157, v63
	v_pk_mul_f32 v[102:103], v[84:85], s[46:47]
	v_pk_add_f32 v[62:63], v[156:157], v[92:93]
	v_pk_add_f32 v[92:93], v[224:225], v[96:97] neg_lo:[0,1] neg_hi:[0,1]
	v_pk_mul_f32 v[154:155], v[86:87], s[22:23]
	v_mov_b32_e32 v161, v93
	v_pk_add_f32 v[92:93], v[40:41], v[102:103] neg_lo:[0,1] neg_hi:[0,1]
	v_pk_add_f32 v[62:63], v[160:161], v[62:63]
	v_mov_b32_e32 v165, v93
	v_pk_add_f32 v[92:93], v[78:79], v[154:155] neg_lo:[0,1] neg_hi:[0,1]
	v_pk_add_f32 v[62:63], v[164:165], v[62:63]
	v_mov_b32_e32 v167, v93
	v_pk_add_f32 v[62:63], v[166:167], v[62:63]
	v_pk_add_f32 v[32:33], v[140:141], v[32:33]
	;; [unrolled: 1-line block ×6, first 2 shown]
	v_accvgpr_read_b32 v79, a7
	v_pk_add_f32 v[62:63], v[180:181], v[62:63]
	v_accvgpr_read_b32 v78, a6
	ds_write2_b64 v56, v[32:33], v[62:63] offset0:6 offset1:7
	ds_write2_b64 v56, v[88:89], v[90:91] offset0:8 offset1:9
	;; [unrolled: 1-line block ×3, first 2 shown]
	v_mov_b32_e32 v113, v129
	v_pk_fma_f32 v[62:63], v[34:35], s[10:11], v[122:123] neg_lo:[0,0,1] neg_hi:[0,0,1]
	v_pk_add_f32 v[32:33], v[76:77], v[112:113]
	v_mov_b32_e32 v63, v159
	v_pk_fma_f32 v[60:61], v[80:81], s[28:29], v[120:121] neg_lo:[0,0,1] neg_hi:[0,0,1]
	v_pk_add_f32 v[32:33], v[62:63], v[32:33]
	v_mov_b32_e32 v61, v135
	v_pk_add_f32 v[32:33], v[60:61], v[32:33]
	v_pk_fma_f32 v[60:61], v[84:85], s[38:39], v[118:119] neg_lo:[0,0,1] neg_hi:[0,0,1]
	v_mov_b32_e32 v247, v253
	v_mov_b32_e32 v61, v153
	v_pk_add_f32 v[32:33], v[60:61], v[32:33]
	v_pk_fma_f32 v[60:61], v[86:87], s[18:19], v[126:127] neg_lo:[0,0,1] neg_hi:[0,0,1]
	v_pk_fma_f32 v[28:29], v[34:35], s[18:19], v[28:29] neg_lo:[0,0,1] neg_hi:[0,0,1]
	v_mov_b32_e32 v61, v169
	v_pk_add_f32 v[32:33], v[60:61], v[32:33]
	v_pk_add_f32 v[60:61], v[76:77], v[246:247]
	v_mov_b32_e32 v29, v49
	v_pk_fma_f32 v[40:41], v[80:81], s[14:15], v[254:255] neg_lo:[0,0,1] neg_hi:[0,0,1]
	v_pk_add_f32 v[28:29], v[28:29], v[60:61]
	v_mov_b32_e32 v41, v47
	v_pk_fma_f32 v[38:39], v[84:85], s[30:31], v[138:139] neg_lo:[0,0,1] neg_hi:[0,0,1]
	v_pk_add_f32 v[28:29], v[40:41], v[28:29]
	v_mov_b32_e32 v39, v171
	v_pk_add_f32 v[28:29], v[38:39], v[28:29]
	v_pk_fma_f32 v[38:39], v[86:87], s[38:39], v[146:147] neg_lo:[0,0,1] neg_hi:[0,0,1]
	v_mov_b32_e32 v111, v131
	v_mov_b32_e32 v39, v175
	v_pk_add_f32 v[28:29], v[38:39], v[28:29]
	v_mov_b32_e32 v217, v37
	v_pk_add_f32 v[32:33], v[110:111], v[32:33]
	v_mov_b32_e32 v105, v125
	v_pk_add_f32 v[28:29], v[216:217], v[28:29]
	v_mov_b32_e32 v179, v45
	v_pk_add_f32 v[32:33], v[104:105], v[32:33]
	v_mov_b32_e32 v99, v117
	v_pk_add_f32 v[28:29], v[178:179], v[28:29]
	v_mov_b32_e32 v95, v43
	v_pk_add_f32 v[32:33], v[98:99], v[32:33]
	v_pk_add_f32 v[28:29], v[94:95], v[28:29]
	ds_write2_b64 v56, v[32:33], v[28:29] offset0:12 offset1:13
	v_mov_b32_e32 v221, v219
	v_pk_fma_f32 v[32:33], v[34:35], s[2:3], v[50:51] neg_lo:[0,0,1] neg_hi:[0,0,1]
	v_pk_add_f32 v[28:29], v[76:77], v[220:221]
	v_mov_b32_e32 v33, v223
	v_pk_add_f32 v[28:29], v[32:33], v[28:29]
	v_pk_fma_f32 v[32:33], v[80:81], s[54:55], v[228:229] neg_lo:[0,0,1] neg_hi:[0,0,1]
	v_mov_b32_e32 v185, v183
	v_mov_b32_e32 v33, v227
	v_pk_add_f32 v[28:29], v[32:33], v[28:29]
	v_pk_fma_f32 v[32:33], v[84:85], s[14:15], v[232:233] neg_lo:[0,0,1] neg_hi:[0,0,1]
	v_pk_fma_f32 v[36:37], v[34:35], s[16:17], v[188:189] neg_lo:[0,0,1] neg_hi:[0,0,1]
	v_mov_b32_e32 v33, v231
	v_pk_add_f32 v[28:29], v[32:33], v[28:29]
	v_pk_fma_f32 v[32:33], v[86:87], s[28:29], v[236:237] neg_lo:[0,0,1] neg_hi:[0,0,1]
	v_mov_b32_e32 v37, v187
	v_mov_b32_e32 v33, v235
	v_pk_add_f32 v[28:29], v[32:33], v[28:29]
	v_pk_add_f32 v[32:33], v[76:77], v[184:185]
	v_mov_b32_e32 v241, v239
	v_pk_add_f32 v[32:33], v[36:37], v[32:33]
	v_pk_fma_f32 v[36:37], v[80:81], s[2:3], v[192:193] neg_lo:[0,0,1] neg_hi:[0,0,1]
	v_mov_b32_e32 v205, v203
	v_mov_b32_e32 v37, v191
	v_pk_add_f32 v[32:33], v[36:37], v[32:33]
	v_pk_fma_f32 v[36:37], v[84:85], s[18:19], v[196:197] neg_lo:[0,0,1] neg_hi:[0,0,1]
	v_pk_add_f32 v[28:29], v[240:241], v[28:29]
	v_mov_b32_e32 v37, v195
	v_pk_add_f32 v[32:33], v[36:37], v[32:33]
	v_pk_fma_f32 v[36:37], v[86:87], s[10:11], v[200:201] neg_lo:[0,0,1] neg_hi:[0,0,1]
	v_mov_b32_e32 v245, v243
	v_mov_b32_e32 v37, v199
	v_pk_add_f32 v[32:33], v[36:37], v[32:33]
	v_mov_b32_e32 v209, v207
	v_pk_add_f32 v[32:33], v[204:205], v[32:33]
	v_pk_add_f32 v[28:29], v[244:245], v[28:29]
	v_mov_b32_e32 v249, v55
	v_pk_add_f32 v[32:33], v[208:209], v[32:33]
	v_mov_b32_e32 v213, v211
	v_pk_add_f32 v[28:29], v[248:249], v[28:29]
	v_pk_add_f32 v[32:33], v[212:213], v[32:33]
	v_mov_b32_e32 v31, v57
	ds_write2_b64 v56, v[28:29], v[32:33] offset0:14 offset1:15
	v_pk_add_f32 v[28:29], v[76:77], v[30:31]
	v_accvgpr_read_b32 v31, a11
	v_accvgpr_read_b32 v30, a10
	v_pk_fma_f32 v[30:31], v[34:35], s[34:35], v[30:31] neg_lo:[0,0,1] neg_hi:[0,0,1]
	v_accvgpr_read_b32 v53, a23
	v_accvgpr_read_b32 v31, a9
	v_pk_add_f32 v[28:29], v[30:31], v[28:29]
	v_accvgpr_read_b32 v31, a17
	v_accvgpr_read_b32 v30, a16
	v_pk_fma_f32 v[30:31], v[80:81], s[38:39], v[30:31] neg_lo:[0,0,1] neg_hi:[0,0,1]
	v_accvgpr_read_b32 v71, a25
	v_accvgpr_read_b32 v31, a13
	v_pk_add_f32 v[28:29], v[30:31], v[28:29]
	v_accvgpr_read_b32 v31, a19
	v_accvgpr_read_b32 v30, a18
	v_pk_fma_f32 v[30:31], v[84:85], s[16:17], v[30:31] neg_lo:[0,0,1] neg_hi:[0,0,1]
	v_accvgpr_read_b32 v153, a5
	v_accvgpr_read_b32 v31, a15
	v_pk_add_f32 v[28:29], v[30:31], v[28:29]
	v_pk_fma_f32 v[30:31], v[86:87], s[40:41], v[214:215] neg_lo:[0,0,1] neg_hi:[0,0,1]
	v_mov_b32_e32 v75, v73
	v_accvgpr_read_b32 v31, a21
	v_pk_add_f32 v[28:29], v[30:31], v[28:29]
	v_accvgpr_read_b32 v152, a4
	v_pk_add_f32 v[28:29], v[52:53], v[28:29]
	;; [unrolled: 2-line block ×3, first 2 shown]
	v_mov_b32_e32 v217, v48
	v_mov_b32_e32 v216, v46
	v_pk_add_f32 v[28:29], v[74:75], v[28:29]
	ds_write_b64 v56, v[28:29] offset:128
.LBB0_17:
	s_or_b64 exec, exec, s[20:21]
	v_mov_b32_e32 v52, v10
	v_mov_b32_e32 v53, v10
	v_add_u32_e32 v10, 0x800, v251
	s_waitcnt lgkmcnt(0)
	s_barrier
	ds_read2_b64 v[28:31], v251 offset1:68
	ds_read2_b64 v[40:43], v251 offset0:170 offset1:238
	ds_read2_b64 v[36:39], v10 offset0:84 offset1:152
	v_add_u32_e32 v10, 0xc00, v251
	ds_read2_b64 v[32:35], v10 offset0:126 offset1:194
	v_mov_b32_e32 v72, v4
	v_mov_b32_e32 v73, v4
	;; [unrolled: 1-line block ×16, first 2 shown]
	s_and_saveexec_b64 s[2:3], s[0:1]
	s_cbranch_execz .LBB0_19
; %bb.18:
	ds_read_b64 v[88:89], v251 offset:1088
	ds_read_b64 v[90:91], v251 offset:2448
	;; [unrolled: 1-line block ×4, first 2 shown]
.LBB0_19:
	s_or_b64 exec, exec, s[2:3]
	s_waitcnt lgkmcnt(2)
	v_pk_mul_f32 v[4:5], v[4:5], v[40:41]
	s_waitcnt lgkmcnt(1)
	v_pk_mul_f32 v[6:7], v[6:7], v[36:37]
	;; [unrolled: 2-line block ×3, first 2 shown]
	v_pk_fma_f32 v[64:65], v[72:73], v[40:41], v[4:5] op_sel:[0,0,1] op_sel_hi:[1,1,0]
	v_pk_fma_f32 v[4:5], v[72:73], v[40:41], v[4:5] op_sel:[0,0,1] op_sel_hi:[1,1,0] neg_lo:[0,0,1] neg_hi:[0,0,1]
	v_pk_mul_f32 v[8:9], v[8:9], v[42:43]
	v_mov_b32_e32 v65, v5
	v_pk_fma_f32 v[4:5], v[70:71], v[36:37], v[6:7] op_sel:[0,0,1] op_sel_hi:[1,1,0]
	v_pk_fma_f32 v[6:7], v[70:71], v[36:37], v[6:7] op_sel:[0,0,1] op_sel_hi:[1,1,0] neg_lo:[0,0,1] neg_hi:[0,0,1]
	v_pk_mul_f32 v[10:11], v[10:11], v[38:39]
	v_mov_b32_e32 v5, v7
	v_pk_fma_f32 v[6:7], v[56:57], v[32:33], v[60:61] op_sel:[0,0,1] op_sel_hi:[1,1,0]
	v_pk_fma_f32 v[32:33], v[56:57], v[32:33], v[60:61] op_sel:[0,0,1] op_sel_hi:[1,1,0] neg_lo:[0,0,1] neg_hi:[0,0,1]
	v_pk_add_f32 v[4:5], v[28:29], v[4:5] neg_lo:[0,1] neg_hi:[0,1]
	v_mov_b32_e32 v7, v33
	v_pk_add_f32 v[6:7], v[64:65], v[6:7] neg_lo:[0,1] neg_hi:[0,1]
	v_pk_fma_f32 v[28:29], v[28:29], 2.0, v[4:5] op_sel_hi:[1,0,1] neg_lo:[0,0,1] neg_hi:[0,0,1]
	v_pk_fma_f32 v[32:33], v[64:65], 2.0, v[6:7] op_sel_hi:[1,0,1] neg_lo:[0,0,1] neg_hi:[0,0,1]
	v_pk_add_f32 v[36:37], v[4:5], v[6:7] op_sel:[0,1] op_sel_hi:[1,0]
	v_pk_add_f32 v[6:7], v[4:5], v[6:7] op_sel:[0,1] op_sel_hi:[1,0] neg_lo:[0,1] neg_hi:[0,1]
	v_pk_add_f32 v[32:33], v[28:29], v[32:33] neg_lo:[0,1] neg_hi:[0,1]
	v_mov_b32_e32 v37, v7
	v_pk_fma_f32 v[28:29], v[28:29], 2.0, v[32:33] op_sel_hi:[1,0,1] neg_lo:[0,0,1] neg_hi:[0,0,1]
	v_pk_fma_f32 v[4:5], v[4:5], 2.0, v[36:37] op_sel_hi:[1,0,1] neg_lo:[0,0,1] neg_hi:[0,0,1]
	s_barrier
	ds_write2_b64 v217, v[28:29], v[4:5] offset1:17
	ds_write2_b64 v217, v[32:33], v[36:37] offset0:34 offset1:51
	v_pk_fma_f32 v[4:5], v[54:55], v[42:43], v[8:9] op_sel:[0,0,1] op_sel_hi:[1,1,0]
	v_pk_fma_f32 v[6:7], v[54:55], v[42:43], v[8:9] op_sel:[0,0,1] op_sel_hi:[1,1,0] neg_lo:[0,0,1] neg_hi:[0,0,1]
	v_pk_mul_f32 v[62:63], v[66:67], v[34:35]
	v_mov_b32_e32 v5, v7
	v_pk_fma_f32 v[6:7], v[52:53], v[38:39], v[10:11] op_sel:[0,0,1] op_sel_hi:[1,1,0]
	v_pk_fma_f32 v[8:9], v[52:53], v[38:39], v[10:11] op_sel:[0,0,1] op_sel_hi:[1,1,0] neg_lo:[0,0,1] neg_hi:[0,0,1]
	v_pk_fma_f32 v[10:11], v[74:75], v[34:35], v[62:63] op_sel:[0,0,1] op_sel_hi:[1,1,0] neg_lo:[0,0,1] neg_hi:[0,0,1]
	v_mov_b32_e32 v7, v9
	v_pk_fma_f32 v[8:9], v[74:75], v[34:35], v[62:63] op_sel:[0,0,1] op_sel_hi:[1,1,0]
	v_pk_add_f32 v[6:7], v[30:31], v[6:7] neg_lo:[0,1] neg_hi:[0,1]
	v_mov_b32_e32 v9, v11
	v_pk_add_f32 v[8:9], v[4:5], v[8:9] neg_lo:[0,1] neg_hi:[0,1]
	v_pk_fma_f32 v[10:11], v[30:31], 2.0, v[6:7] op_sel_hi:[1,0,1] neg_lo:[0,0,1] neg_hi:[0,0,1]
	v_pk_fma_f32 v[4:5], v[4:5], 2.0, v[8:9] op_sel_hi:[1,0,1] neg_lo:[0,0,1] neg_hi:[0,0,1]
	v_pk_add_f32 v[28:29], v[6:7], v[8:9] op_sel:[0,1] op_sel_hi:[1,0]
	v_pk_add_f32 v[8:9], v[6:7], v[8:9] op_sel:[0,1] op_sel_hi:[1,0] neg_lo:[0,1] neg_hi:[0,1]
	v_pk_add_f32 v[4:5], v[10:11], v[4:5] neg_lo:[0,1] neg_hi:[0,1]
	v_mov_b32_e32 v29, v9
	v_mov_b32_e32 v50, v26
	;; [unrolled: 1-line block ×13, first 2 shown]
	v_pk_fma_f32 v[10:11], v[10:11], 2.0, v[4:5] op_sel_hi:[1,0,1] neg_lo:[0,0,1] neg_hi:[0,0,1]
	v_pk_fma_f32 v[6:7], v[6:7], 2.0, v[28:29] op_sel_hi:[1,0,1] neg_lo:[0,0,1] neg_hi:[0,0,1]
	ds_write2_b64 v216, v[10:11], v[6:7] offset1:17
	ds_write2_b64 v216, v[4:5], v[28:29] offset0:34 offset1:51
	s_and_saveexec_b64 s[2:3], s[0:1]
	s_cbranch_execz .LBB0_21
; %bb.20:
	v_accvgpr_read_b32 v10, a1
	v_mul_u32_u24_e32 v10, 0x44, v10
	v_accvgpr_read_b32 v11, a3
	v_pk_mul_f32 v[4:5], v[2:3], v[82:83] op_sel:[0,1]
	v_pk_mul_f32 v[6:7], v[0:1], v[90:91] op_sel:[0,1]
	v_add_u32_e32 v10, v10, v11
	v_pk_mul_f32 v[8:9], v[152:153], v[78:79] op_sel:[0,1]
	v_lshl_add_u32 v28, v10, 3, v59
	v_pk_fma_f32 v[10:11], v[2:3], v[82:83], v[4:5] op_sel:[0,0,1] op_sel_hi:[1,1,0]
	v_pk_fma_f32 v[2:3], v[2:3], v[82:83], v[4:5] op_sel:[0,0,1] op_sel_hi:[1,0,0] neg_lo:[1,0,0] neg_hi:[1,0,0]
	v_pk_fma_f32 v[4:5], v[0:1], v[90:91], v[6:7] op_sel:[0,0,1] op_sel_hi:[1,1,0]
	v_pk_fma_f32 v[0:1], v[0:1], v[90:91], v[6:7] op_sel:[0,0,1] op_sel_hi:[1,0,0] neg_lo:[1,0,0] neg_hi:[1,0,0]
	v_pk_fma_f32 v[6:7], v[152:153], v[78:79], v[8:9] op_sel:[0,0,1] op_sel_hi:[1,0,0] neg_lo:[1,0,0] neg_hi:[1,0,0]
	v_mov_b32_e32 v5, v1
	v_pk_fma_f32 v[0:1], v[152:153], v[78:79], v[8:9] op_sel:[0,0,1] op_sel_hi:[1,1,0]
	v_mov_b32_e32 v11, v3
	v_mov_b32_e32 v1, v7
	v_pk_add_f32 v[2:3], v[88:89], v[10:11] neg_lo:[0,1] neg_hi:[0,1]
	v_pk_add_f32 v[0:1], v[4:5], v[0:1] neg_lo:[0,1] neg_hi:[0,1]
	v_pk_fma_f32 v[6:7], v[88:89], 2.0, v[2:3] op_sel_hi:[1,0,1] neg_lo:[0,0,1] neg_hi:[0,0,1]
	v_pk_fma_f32 v[4:5], v[4:5], 2.0, v[0:1] op_sel_hi:[1,0,1] neg_lo:[0,0,1] neg_hi:[0,0,1]
	v_pk_add_f32 v[8:9], v[2:3], v[0:1] op_sel:[0,1] op_sel_hi:[1,0]
	v_pk_add_f32 v[0:1], v[2:3], v[0:1] op_sel:[0,1] op_sel_hi:[1,0] neg_lo:[0,1] neg_hi:[0,1]
	v_pk_add_f32 v[4:5], v[6:7], v[4:5] neg_lo:[0,1] neg_hi:[0,1]
	v_mov_b32_e32 v9, v1
	v_pk_fma_f32 v[6:7], v[6:7], 2.0, v[4:5] op_sel_hi:[1,0,1] neg_lo:[0,0,1] neg_hi:[0,0,1]
	v_pk_fma_f32 v[0:1], v[2:3], 2.0, v[8:9] op_sel_hi:[1,0,1] neg_lo:[0,0,1] neg_hi:[0,0,1]
	ds_write2_b64 v28, v[6:7], v[0:1] offset1:17
	ds_write2_b64 v28, v[4:5], v[8:9] offset0:34 offset1:51
.LBB0_21:
	s_or_b64 exec, exec, s[2:3]
	s_waitcnt lgkmcnt(0)
	s_barrier
	ds_read2_b64 v[0:3], v251 offset1:68
	ds_read2_b64 v[4:7], v251 offset0:136 offset1:204
	v_add_u32_e32 v28, 0x800, v251
	ds_read2_b64 v[8:11], v28 offset0:16 offset1:220
	ds_read2_b64 v[28:31], v28 offset0:84 offset1:152
	v_add_u32_e32 v32, 0x1000, v251
	s_waitcnt lgkmcnt(3)
	v_pk_mul_f32 v[36:37], v[24:25], v[2:3] op_sel:[1,0]
	ds_read2_b64 v[32:35], v32 offset0:32 offset1:100
	v_pk_fma_f32 v[38:39], v[24:25], v[2:3], v[36:37] op_sel:[0,0,1] op_sel_hi:[0,1,0]
	v_pk_fma_f32 v[2:3], v[24:25], v[2:3], v[36:37] op_sel:[0,0,1] op_sel_hi:[0,1,0] neg_lo:[0,0,1] neg_hi:[0,0,1]
	s_waitcnt lgkmcnt(3)
	v_pk_mul_f32 v[24:25], v[26:27], v[4:5]
	s_mov_b32 s0, 0x3e9e377a
	v_pk_fma_f32 v[26:27], v[50:51], v[4:5], v[24:25] op_sel:[0,0,1] op_sel_hi:[1,1,0]
	v_pk_fma_f32 v[4:5], v[50:51], v[4:5], v[24:25] op_sel:[0,0,1] op_sel_hi:[1,1,0] neg_lo:[0,0,1] neg_hi:[0,0,1]
	s_mov_b32 s1, 0x3f167918
	v_mov_b32_e32 v27, v5
	v_pk_mul_f32 v[4:5], v[20:21], v[6:7] op_sel:[1,0]
	v_mov_b32_e32 v39, v3
	v_pk_fma_f32 v[24:25], v[20:21], v[6:7], v[4:5] op_sel:[0,0,1] op_sel_hi:[1,1,0]
	v_pk_fma_f32 v[4:5], v[20:21], v[6:7], v[4:5] op_sel:[0,0,1] op_sel_hi:[0,1,0] neg_lo:[0,0,1] neg_hi:[0,0,1]
	s_waitcnt lgkmcnt(2)
	v_pk_mul_f32 v[6:7], v[22:23], v[8:9]
	v_mov_b32_e32 v36, v24
	v_pk_fma_f32 v[20:21], v[48:49], v[8:9], v[6:7] op_sel:[0,0,1] op_sel_hi:[1,1,0]
	v_pk_fma_f32 v[6:7], v[48:49], v[8:9], v[6:7] op_sel:[0,0,1] op_sel_hi:[1,1,0] neg_lo:[0,0,1] neg_hi:[0,0,1]
	v_mov_b32_e32 v25, v5
	v_mov_b32_e32 v21, v7
	s_waitcnt lgkmcnt(1)
	v_pk_mul_f32 v[6:7], v[16:17], v[28:29] op_sel:[1,0]
	s_mov_b32 s2, 0x3f737871
	v_pk_fma_f32 v[8:9], v[16:17], v[28:29], v[6:7] op_sel:[0,0,1] op_sel_hi:[1,1,0]
	v_pk_fma_f32 v[6:7], v[16:17], v[28:29], v[6:7] op_sel:[0,0,1] op_sel_hi:[0,1,0] neg_lo:[0,0,1] neg_hi:[0,0,1]
	v_pk_mul_f32 v[16:17], v[18:19], v[30:31]
	v_mov_b32_e32 v40, v8
	v_pk_fma_f32 v[18:19], v[46:47], v[30:31], v[16:17] op_sel:[0,0,1] op_sel_hi:[1,1,0]
	v_pk_fma_f32 v[16:17], v[46:47], v[30:31], v[16:17] op_sel:[0,0,1] op_sel_hi:[1,1,0] neg_lo:[0,0,1] neg_hi:[0,0,1]
	v_mov_b32_e32 v9, v7
	v_mov_b32_e32 v19, v17
	v_pk_mul_f32 v[16:17], v[12:13], v[10:11] op_sel:[1,0]
	v_pk_add_f32 v[28:29], v[0:1], v[26:27]
	v_pk_fma_f32 v[22:23], v[12:13], v[10:11], v[16:17] op_sel:[0,0,1] op_sel_hi:[1,1,0]
	v_pk_fma_f32 v[10:11], v[12:13], v[10:11], v[16:17] op_sel:[0,0,1] op_sel_hi:[0,1,0] neg_lo:[0,0,1] neg_hi:[0,0,1]
	s_waitcnt lgkmcnt(0)
	v_pk_mul_f32 v[12:13], v[14:15], v[32:33]
	v_mov_b32_e32 v41, v22
	v_pk_fma_f32 v[14:15], v[44:45], v[32:33], v[12:13] op_sel:[0,0,1] op_sel_hi:[1,1,0]
	v_pk_fma_f32 v[12:13], v[44:45], v[32:33], v[12:13] op_sel:[0,0,1] op_sel_hi:[1,1,0] neg_lo:[0,0,1] neg_hi:[0,0,1]
	v_mov_b32_e32 v23, v11
	v_mov_b32_e32 v15, v13
	v_pk_mul_f32 v[12:13], v[68:69], v[34:35] op_sel:[1,0]
	v_pk_add_f32 v[30:31], v[8:9], v[22:23]
	v_pk_fma_f32 v[16:17], v[68:69], v[34:35], v[12:13] op_sel:[0,0,1] op_sel_hi:[1,1,0]
	v_pk_fma_f32 v[12:13], v[68:69], v[34:35], v[12:13] op_sel:[0,0,1] op_sel_hi:[0,1,0] neg_lo:[0,0,1] neg_hi:[0,0,1]
	v_mov_b32_e32 v37, v16
	v_pk_add_f32 v[42:43], v[36:37], v[40:41] neg_lo:[0,1] neg_hi:[0,1]
	v_mov_b32_e32 v17, v13
	v_mov_b32_e32 v2, v43
	v_pk_add_f32 v[34:35], v[8:9], v[22:23] neg_lo:[0,1] neg_hi:[0,1]
	v_pk_add_f32 v[42:43], v[42:43], v[2:3]
	v_fma_f32 v4, -0.5, v30, v38
	v_pk_add_f32 v[32:33], v[24:25], v[16:17] neg_lo:[0,1] neg_hi:[0,1]
	v_mov_b32_e32 v43, v35
	v_fmamk_f32 v6, v33, 0xbf737871, v4
	v_pk_mul_f32 v[42:43], v[42:43], s[0:1]
	v_fmac_f32_e32 v4, 0x3f737871, v33
	v_pk_add_f32 v[36:37], v[40:41], v[36:37] neg_lo:[0,1] neg_hi:[0,1]
	v_sub_f32_e32 v2, v6, v43
	v_add_f32_e32 v4, v43, v4
	v_mov_b32_e32 v6, v37
	v_add_f32_e32 v2, v42, v2
	v_add_f32_e32 v4, v42, v4
	v_pk_add_f32 v[42:43], v[24:25], v[16:17]
	v_mov_b32_e32 v10, v38
	v_pk_add_f32 v[36:37], v[36:37], v[6:7]
	v_fmac_f32_e32 v10, -0.5, v42
	v_mov_b32_e32 v37, v33
	v_fmamk_f32 v12, v35, 0x3f737871, v10
	v_pk_mul_f32 v[36:37], v[36:37], s[0:1]
	v_fmac_f32_e32 v10, 0xbf737871, v35
	v_pk_add_f32 v[24:25], v[38:39], v[24:25]
	v_add_f32_e32 v10, v37, v10
	v_pk_add_f32 v[8:9], v[24:25], v[8:9]
	v_sub_f32_e32 v6, v12, v37
	v_add_f32_e32 v30, v36, v10
	v_pk_add_f32 v[8:9], v[8:9], v[22:23]
	v_mov_b32_e32 v12, v5
	v_mov_b32_e32 v10, v7
	v_pk_add_f32 v[8:9], v[8:9], v[16:17]
	v_pk_add_f32 v[16:17], v[12:13], v[10:11] neg_lo:[0,1] neg_hi:[0,1]
	v_fma_f32 v23, -0.5, v31, v3
	v_mov_b32_e32 v22, v17
	v_pk_add_f32 v[16:17], v[16:17], v[22:23]
	v_pk_add_f32 v[28:29], v[28:29], v[20:21]
	v_mov_b32_e32 v17, v34
	v_pk_add_f32 v[10:11], v[10:11], v[12:13] neg_lo:[0,1] neg_hi:[0,1]
	v_pk_add_f32 v[28:29], v[28:29], v[18:19]
	v_fmamk_f32 v24, v32, 0x3f737871, v23
	v_pk_mul_f32 v[16:17], v[16:17], s[0:1]
	v_mov_b32_e32 v12, v11
	v_pk_add_f32 v[28:29], v[28:29], v[14:15]
	v_add_f32_e32 v5, v17, v24
	v_fmac_f32_e32 v23, 0xbf737871, v32
	v_pk_add_f32 v[10:11], v[10:11], v[12:13]
	v_add_f32_e32 v22, v16, v5
	v_sub_f32_e32 v5, v23, v17
	v_fmac_f32_e32 v3, -0.5, v43
	v_mov_b32_e32 v11, v32
	v_pk_add_f32 v[24:25], v[28:29], v[8:9]
	v_add_f32_e32 v16, v16, v5
	v_fmamk_f32 v5, v34, 0xbf737871, v3
	v_pk_mul_f32 v[10:11], v[10:11], s[0:1]
	ds_write_b64 v250, v[24:25]
	v_pk_add_f32 v[24:25], v[20:21], v[18:19]
	v_pk_add_f32 v[32:33], v[26:27], v[14:15] neg_lo:[0,1] neg_hi:[0,1]
	s_mov_b32 s16, 0x3f4f1bbd
	v_add_f32_e32 v6, v36, v6
	v_add_f32_e32 v5, v11, v5
	v_fmac_f32_e32 v3, 0x3f737871, v34
	v_pk_fma_f32 v[24:25], v[24:25], 0.5, v[0:1] op_sel_hi:[1,0,1] neg_lo:[1,0,0] neg_hi:[1,0,0]
	v_pk_mul_f32 v[34:35], v[32:33], s[2:3] op_sel_hi:[1,0]
	v_pk_add_f32 v[36:37], v[20:21], v[18:19] neg_lo:[0,1] neg_hi:[0,1]
	s_mov_b32 s14, s1
	v_pk_add_f32 v[40:41], v[26:27], v[20:21] neg_lo:[0,1] neg_hi:[0,1]
	v_pk_add_f32 v[42:43], v[14:15], v[18:19] neg_lo:[0,1] neg_hi:[0,1]
	s_mov_b32 s18, s1
	s_mov_b32 s19, s16
	v_add_f32_e32 v12, v10, v5
	v_sub_f32_e32 v3, v3, v11
	v_pk_mul_f32 v[38:39], v[36:37], s[14:15] op_sel_hi:[1,0]
	v_pk_add_f32 v[40:41], v[40:41], v[42:43]
	v_pk_add_f32 v[42:43], v[24:25], v[34:35] op_sel:[0,1] op_sel_hi:[1,0] neg_lo:[0,1] neg_hi:[0,1]
	s_mov_b32 s17, s1
	v_pk_mul_f32 v[22:23], v[22:23], s[18:19] op_sel_hi:[0,1]
	s_mov_b32 s3, s0
	v_add_f32_e32 v10, v10, v3
	v_pk_add_f32 v[24:25], v[24:25], v[34:35] op_sel:[0,1] op_sel_hi:[1,0]
	v_pk_add_f32 v[34:35], v[42:43], v[38:39] op_sel:[0,1] op_sel_hi:[1,0] neg_lo:[0,1] neg_hi:[0,1]
	v_pk_fma_f32 v[42:43], v[2:3], s[16:17], v[22:23] neg_lo:[0,0,1] neg_hi:[0,0,1]
	v_pk_fma_f32 v[2:3], v[2:3], s[16:17], v[22:23] op_sel_hi:[0,1,1]
	s_mov_b32 s16, s0
	s_mov_b32 s17, s2
	v_pk_mul_f32 v[12:13], v[12:13], s[2:3] op_sel_hi:[0,1]
	v_pk_add_f32 v[22:23], v[26:27], v[14:15]
	v_pk_add_f32 v[14:15], v[18:19], v[14:15] neg_lo:[0,1] neg_hi:[0,1]
	v_pk_fma_f32 v[18:19], v[6:7], s[16:17], v[12:13] neg_lo:[0,0,1] neg_hi:[0,0,1]
	v_pk_fma_f32 v[6:7], v[6:7], s[16:17], v[12:13] op_sel_hi:[0,1,1]
	v_pk_fma_f32 v[0:1], v[22:23], 0.5, v[0:1] op_sel_hi:[1,0,1] neg_lo:[1,0,0] neg_hi:[1,0,0]
	v_pk_add_f32 v[20:21], v[20:21], v[26:27] neg_lo:[0,1] neg_hi:[0,1]
	v_mov_b32_e32 v19, v7
	v_pk_mul_f32 v[6:7], v[36:37], s[2:3] op_sel_hi:[1,0]
	v_pk_add_f32 v[14:15], v[20:21], v[14:15]
	v_pk_mul_f32 v[12:13], v[32:33], s[14:15] op_sel_hi:[1,0]
	v_pk_add_f32 v[20:21], v[0:1], v[6:7] op_sel:[0,1] op_sel_hi:[1,0]
	v_pk_add_f32 v[0:1], v[0:1], v[6:7] op_sel:[0,1] op_sel_hi:[1,0] neg_lo:[0,1] neg_hi:[0,1]
	v_pk_add_f32 v[24:25], v[24:25], v[38:39] op_sel:[0,1] op_sel_hi:[1,0]
	v_pk_add_f32 v[0:1], v[0:1], v[12:13] op_sel:[0,1] op_sel_hi:[1,0]
	v_pk_add_f32 v[6:7], v[20:21], v[12:13] op_sel:[0,1] op_sel_hi:[1,0] neg_lo:[0,1] neg_hi:[0,1]
	v_mov_b32_e32 v38, v34
	v_mov_b32_e32 v39, v25
	;; [unrolled: 1-line block ×4, first 2 shown]
	v_pk_fma_f32 v[38:39], v[40:41], s[0:1], v[38:39] op_sel_hi:[1,0,1]
	v_mov_b32_e32 v43, v3
	v_pk_fma_f32 v[12:13], v[14:15], s[0:1], v[12:13] op_sel_hi:[1,0,1]
	v_pk_add_f32 v[2:3], v[38:39], v[42:43]
	v_pk_add_f32 v[20:21], v[12:13], v[18:19]
	ds_write2_b64 v250, v[2:3], v[20:21] offset0:68 offset1:136
	s_mov_b32 s14, 0xbe9e377a
	s_mov_b32 s15, s2
	v_pk_mul_f32 v[2:3], v[10:11], s[2:3] op_sel_hi:[0,1]
	v_mov_b32_e32 v1, v7
	s_mov_b32 s2, 0xbf4f1bbd
	s_mov_b32 s3, s1
	v_pk_mul_f32 v[6:7], v[16:17], s[18:19] op_sel_hi:[0,1]
	v_mov_b32_e32 v25, v35
	v_pk_fma_f32 v[10:11], v[30:31], s[14:15], v[2:3] op_sel_hi:[0,1,1] neg_lo:[0,0,1] neg_hi:[0,0,1]
	v_pk_fma_f32 v[0:1], v[14:15], s[0:1], v[0:1] op_sel_hi:[1,0,1]
	v_pk_fma_f32 v[4:5], v[4:5], s[2:3], v[6:7] op_sel_hi:[0,1,1] neg_lo:[0,0,1] neg_hi:[0,0,1]
	v_pk_fma_f32 v[6:7], v[40:41], s[0:1], v[24:25] op_sel_hi:[1,0,1]
	v_pk_add_f32 v[2:3], v[0:1], v[10:11]
	v_pk_add_f32 v[14:15], v[6:7], v[4:5]
	v_add_u32_e32 v16, 0x400, v250
	ds_write2_b64 v16, v[2:3], v[14:15] offset0:76 offset1:144
	v_pk_add_f32 v[8:9], v[28:29], v[8:9] neg_lo:[0,1] neg_hi:[0,1]
	v_pk_add_f32 v[14:15], v[38:39], v[42:43] neg_lo:[0,1] neg_hi:[0,1]
	v_add_u32_e32 v2, 0x800, v250
	ds_write2_b64 v2, v[8:9], v[14:15] offset0:84 offset1:152
	v_pk_add_f32 v[8:9], v[12:13], v[18:19] neg_lo:[0,1] neg_hi:[0,1]
	v_pk_add_f32 v[0:1], v[0:1], v[10:11] neg_lo:[0,1] neg_hi:[0,1]
	v_add_u32_e32 v3, 0xc00, v250
	s_movk_i32 s10, 0x1000
	ds_write2_b64 v3, v[8:9], v[0:1] offset0:92 offset1:160
	v_pk_add_f32 v[0:1], v[6:7], v[4:5] neg_lo:[0,1] neg_hi:[0,1]
	s_and_b64 s[0:1], exec, vcc
	v_accvgpr_read_b32 v16, a2
	ds_write_b64 v250, v[0:1] offset:4896
	s_waitcnt lgkmcnt(0)
	s_barrier
	s_mov_b64 exec, s[0:1]
	s_cbranch_execz .LBB0_23
; %bb.22:
	global_load_dwordx2 v[4:5], v58, s[8:9]
	ds_read_b64 v[8:9], v250
	v_mad_u64_u32 v[6:7], s[0:1], s6, v16, 0
	v_mov_b32_e32 v12, v7
	v_mad_u64_u32 v[12:13], s[2:3], s7, v16, v[12:13]
	v_mov_b32_e32 v0, s12
	v_mov_b32_e32 v1, s13
	v_mad_u64_u32 v[10:11], s[2:3], s4, v146, 0
	v_mov_b32_e32 v7, v12
	s_mov_b32 s0, 0x18181818
	v_mov_b32_e32 v14, v11
	v_lshl_add_u64 v[0:1], v[6:7], 3, v[0:1]
	s_mov_b32 s1, 0x3f581818
	v_mad_u64_u32 v[14:15], s[2:3], s5, v146, v[14:15]
	v_mov_b32_e32 v11, v14
	v_lshl_add_u64 v[10:11], v[10:11], 3, v[0:1]
	v_mov_b32_e32 v14, 0x140
	s_mul_i32 s2, s5, 0x140
	s_mul_i32 s3, s5, 0x280
	v_mov_b32_e32 v59, 0
	s_waitcnt vmcnt(0) lgkmcnt(0)
	v_mul_f32_e32 v3, v9, v5
	v_mul_f32_e32 v5, v8, v5
	v_fmac_f32_e32 v3, v8, v4
	v_fma_f32 v6, v4, v9, -v5
	v_cvt_f64_f32_e32 v[4:5], v3
	v_cvt_f64_f32_e32 v[6:7], v6
	v_mul_f64 v[4:5], v[4:5], s[0:1]
	v_mul_f64 v[6:7], v[6:7], s[0:1]
	v_cvt_f32_f64_e32 v4, v[4:5]
	v_cvt_f32_f64_e32 v5, v[6:7]
	global_store_dwordx2 v[10:11], v[4:5], off
	global_load_dwordx2 v[8:9], v58, s[8:9] offset:320
	ds_read2_b64 v[4:7], v250 offset0:40 offset1:80
	v_mad_u64_u32 v[10:11], s[6:7], s4, v14, v[10:11]
	v_add_u32_e32 v11, s2, v11
	s_waitcnt vmcnt(0) lgkmcnt(0)
	v_mul_f32_e32 v3, v5, v9
	v_mul_f32_e32 v9, v4, v9
	v_fmac_f32_e32 v3, v4, v8
	v_fma_f32 v8, v8, v5, -v9
	v_cvt_f64_f32_e32 v[4:5], v3
	v_cvt_f64_f32_e32 v[8:9], v8
	v_mul_f64 v[4:5], v[4:5], s[0:1]
	v_mul_f64 v[8:9], v[8:9], s[0:1]
	v_cvt_f32_f64_e32 v4, v[4:5]
	v_cvt_f32_f64_e32 v5, v[8:9]
	global_store_dwordx2 v[10:11], v[4:5], off
	global_load_dwordx2 v[4:5], v58, s[8:9] offset:640
	v_mad_u64_u32 v[8:9], s[6:7], s4, v14, v[10:11]
	v_add_u32_e32 v9, s2, v9
	s_waitcnt vmcnt(0)
	v_mul_f32_e32 v3, v7, v5
	v_mul_f32_e32 v5, v6, v5
	v_fmac_f32_e32 v3, v6, v4
	v_fma_f32 v6, v4, v7, -v5
	v_cvt_f64_f32_e32 v[4:5], v3
	v_cvt_f64_f32_e32 v[6:7], v6
	v_mul_f64 v[4:5], v[4:5], s[0:1]
	v_mul_f64 v[6:7], v[6:7], s[0:1]
	v_cvt_f32_f64_e32 v4, v[4:5]
	v_cvt_f32_f64_e32 v5, v[6:7]
	global_store_dwordx2 v[8:9], v[4:5], off
	global_load_dwordx2 v[10:11], v58, s[8:9] offset:960
	ds_read2_b64 v[4:7], v250 offset0:120 offset1:160
	v_mad_u64_u32 v[8:9], s[6:7], s4, v14, v[8:9]
	v_add_u32_e32 v9, s2, v9
	s_waitcnt vmcnt(0) lgkmcnt(0)
	v_mul_f32_e32 v3, v5, v11
	v_mul_f32_e32 v11, v4, v11
	v_fmac_f32_e32 v3, v4, v10
	v_fma_f32 v10, v10, v5, -v11
	v_cvt_f64_f32_e32 v[4:5], v3
	v_cvt_f64_f32_e32 v[10:11], v10
	v_mul_f64 v[4:5], v[4:5], s[0:1]
	v_mul_f64 v[10:11], v[10:11], s[0:1]
	v_cvt_f32_f64_e32 v4, v[4:5]
	v_cvt_f32_f64_e32 v5, v[10:11]
	global_store_dwordx2 v[8:9], v[4:5], off
	global_load_dwordx2 v[4:5], v58, s[8:9] offset:1280
	v_mad_u64_u32 v[8:9], s[6:7], s4, v14, v[8:9]
	v_add_u32_e32 v9, s2, v9
	s_waitcnt vmcnt(0)
	;; [unrolled: 31-line block ×3, first 2 shown]
	v_mul_f32_e32 v3, v7, v5
	v_mul_f32_e32 v5, v6, v5
	v_fmac_f32_e32 v3, v6, v4
	v_fma_f32 v6, v4, v7, -v5
	v_cvt_f64_f32_e32 v[4:5], v3
	v_cvt_f64_f32_e32 v[6:7], v6
	v_mul_f64 v[4:5], v[4:5], s[0:1]
	v_mul_f64 v[6:7], v[6:7], s[0:1]
	v_cvt_f32_f64_e32 v4, v[4:5]
	v_cvt_f32_f64_e32 v5, v[6:7]
	global_store_dwordx2 v[8:9], v[4:5], off
	global_load_dwordx2 v[10:11], v58, s[8:9] offset:2240
	ds_read2_b64 v[4:7], v2 offset0:24 offset1:64
	v_mad_u64_u32 v[8:9], s[6:7], s4, v14, v[8:9]
	v_add_u32_e32 v9, s2, v9
	s_waitcnt vmcnt(0) lgkmcnt(0)
	v_mul_f32_e32 v3, v5, v11
	v_mul_f32_e32 v11, v4, v11
	v_fmac_f32_e32 v3, v4, v10
	v_fma_f32 v10, v10, v5, -v11
	v_cvt_f64_f32_e32 v[4:5], v3
	v_cvt_f64_f32_e32 v[10:11], v10
	v_mul_f64 v[4:5], v[4:5], s[0:1]
	v_mul_f64 v[10:11], v[10:11], s[0:1]
	v_cvt_f32_f64_e32 v4, v[4:5]
	v_cvt_f32_f64_e32 v5, v[10:11]
	global_store_dwordx2 v[8:9], v[4:5], off
	global_load_dwordx2 v[4:5], v58, s[8:9] offset:2560
	v_or_b32_e32 v3, 0x140, v146
	v_mad_u64_u32 v[10:11], s[6:7], s4, v3, 0
	v_mov_b32_e32 v12, v11
	v_mad_u64_u32 v[12:13], s[6:7], s5, v3, v[12:13]
	v_mov_b32_e32 v11, v12
	v_lshl_add_u64 v[10:11], v[10:11], 3, v[0:1]
	v_add_u32_e32 v12, 0x1000, v250
	s_waitcnt vmcnt(0)
	v_mul_f32_e32 v3, v7, v5
	v_mul_f32_e32 v5, v6, v5
	v_fmac_f32_e32 v3, v6, v4
	v_fma_f32 v6, v4, v7, -v5
	v_cvt_f64_f32_e32 v[4:5], v3
	v_cvt_f64_f32_e32 v[6:7], v6
	v_mul_f64 v[4:5], v[4:5], s[0:1]
	v_mul_f64 v[6:7], v[6:7], s[0:1]
	v_cvt_f32_f64_e32 v4, v[4:5]
	v_cvt_f32_f64_e32 v5, v[6:7]
	global_store_dwordx2 v[10:11], v[4:5], off
	global_load_dwordx2 v[10:11], v58, s[8:9] offset:2880
	ds_read2_b64 v[4:7], v2 offset0:104 offset1:144
	v_mov_b32_e32 v3, 0x280
	v_mad_u64_u32 v[8:9], s[6:7], s4, v3, v[8:9]
	v_add_u32_e32 v9, s3, v9
	s_waitcnt vmcnt(0) lgkmcnt(0)
	v_mul_f32_e32 v3, v5, v11
	v_mul_f32_e32 v11, v4, v11
	v_fmac_f32_e32 v3, v4, v10
	v_fma_f32 v10, v10, v5, -v11
	v_cvt_f64_f32_e32 v[4:5], v3
	v_cvt_f64_f32_e32 v[10:11], v10
	v_mul_f64 v[4:5], v[4:5], s[0:1]
	v_mul_f64 v[10:11], v[10:11], s[0:1]
	v_cvt_f32_f64_e32 v4, v[4:5]
	v_cvt_f32_f64_e32 v5, v[10:11]
	global_store_dwordx2 v[8:9], v[4:5], off
	global_load_dwordx2 v[4:5], v58, s[8:9] offset:3200
	v_mad_u64_u32 v[8:9], s[6:7], s4, v14, v[8:9]
	v_add_u32_e32 v9, s2, v9
	s_waitcnt vmcnt(0)
	v_mul_f32_e32 v3, v7, v5
	v_mul_f32_e32 v5, v6, v5
	v_fmac_f32_e32 v3, v6, v4
	v_fma_f32 v6, v4, v7, -v5
	v_cvt_f64_f32_e32 v[4:5], v3
	v_cvt_f64_f32_e32 v[6:7], v6
	v_mul_f64 v[4:5], v[4:5], s[0:1]
	v_mul_f64 v[6:7], v[6:7], s[0:1]
	v_cvt_f32_f64_e32 v4, v[4:5]
	v_cvt_f32_f64_e32 v5, v[6:7]
	global_store_dwordx2 v[8:9], v[4:5], off
	global_load_dwordx2 v[6:7], v58, s[8:9] offset:3520
	ds_read2_b64 v[2:5], v2 offset0:184 offset1:224
	v_mad_u64_u32 v[8:9], s[6:7], s4, v14, v[8:9]
	v_add_u32_e32 v9, s2, v9
	s_waitcnt vmcnt(0) lgkmcnt(0)
	v_mul_f32_e32 v10, v3, v7
	v_mul_f32_e32 v7, v2, v7
	v_fmac_f32_e32 v10, v2, v6
	v_fma_f32 v6, v6, v3, -v7
	v_cvt_f64_f32_e32 v[2:3], v10
	v_cvt_f64_f32_e32 v[6:7], v6
	v_mul_f64 v[2:3], v[2:3], s[0:1]
	v_mul_f64 v[6:7], v[6:7], s[0:1]
	v_cvt_f32_f64_e32 v2, v[2:3]
	v_cvt_f32_f64_e32 v3, v[6:7]
	global_store_dwordx2 v[8:9], v[2:3], off
	global_load_dwordx2 v[2:3], v58, s[8:9] offset:3840
	v_lshl_add_u64 v[6:7], s[8:9], 0, v[58:59]
	v_mad_u64_u32 v[8:9], s[6:7], s4, v14, v[8:9]
	v_add_co_u32_e32 v6, vcc, s10, v6
	v_add_u32_e32 v9, s2, v9
	s_nop 0
	v_addc_co_u32_e32 v7, vcc, 0, v7, vcc
	s_waitcnt vmcnt(0)
	v_mul_f32_e32 v10, v5, v3
	v_mul_f32_e32 v3, v4, v3
	v_fmac_f32_e32 v10, v4, v2
	v_fma_f32 v4, v2, v5, -v3
	v_cvt_f64_f32_e32 v[2:3], v10
	v_cvt_f64_f32_e32 v[4:5], v4
	v_mul_f64 v[2:3], v[2:3], s[0:1]
	v_mul_f64 v[4:5], v[4:5], s[0:1]
	v_cvt_f32_f64_e32 v2, v[2:3]
	v_cvt_f32_f64_e32 v3, v[4:5]
	global_store_dwordx2 v[8:9], v[2:3], off
	global_load_dwordx2 v[10:11], v[6:7], off offset:64
	ds_read2_b64 v[2:5], v12 offset0:8 offset1:48
	v_mad_u64_u32 v[8:9], s[6:7], s4, v14, v[8:9]
	v_add_u32_e32 v9, s2, v9
	s_waitcnt vmcnt(0) lgkmcnt(0)
	v_mul_f32_e32 v13, v3, v11
	v_mul_f32_e32 v11, v2, v11
	v_fmac_f32_e32 v13, v2, v10
	v_fma_f32 v10, v10, v3, -v11
	v_cvt_f64_f32_e32 v[2:3], v13
	v_cvt_f64_f32_e32 v[10:11], v10
	v_mul_f64 v[2:3], v[2:3], s[0:1]
	v_mul_f64 v[10:11], v[10:11], s[0:1]
	v_cvt_f32_f64_e32 v2, v[2:3]
	v_cvt_f32_f64_e32 v3, v[10:11]
	global_store_dwordx2 v[8:9], v[2:3], off
	global_load_dwordx2 v[2:3], v[6:7], off offset:384
	v_mad_u64_u32 v[8:9], s[6:7], s4, v14, v[8:9]
	v_add_u32_e32 v9, s2, v9
	s_waitcnt vmcnt(0)
	v_mul_f32_e32 v10, v5, v3
	v_mul_f32_e32 v3, v4, v3
	v_fmac_f32_e32 v10, v4, v2
	v_fma_f32 v4, v2, v5, -v3
	v_cvt_f64_f32_e32 v[2:3], v10
	v_cvt_f64_f32_e32 v[4:5], v4
	v_mul_f64 v[2:3], v[2:3], s[0:1]
	v_mul_f64 v[4:5], v[4:5], s[0:1]
	v_cvt_f32_f64_e32 v2, v[2:3]
	v_cvt_f32_f64_e32 v3, v[4:5]
	global_store_dwordx2 v[8:9], v[2:3], off
	global_load_dwordx2 v[6:7], v[6:7], off offset:704
	ds_read2_b64 v[2:5], v12 offset0:88 offset1:128
	v_mad_u64_u32 v[8:9], s[6:7], s4, v14, v[8:9]
	v_or_b32_e32 v10, 0x280, v146
	v_add_u32_e32 v9, s2, v9
	v_lshlrev_b32_e32 v11, 3, v10
	s_waitcnt vmcnt(0) lgkmcnt(0)
	v_mul_f32_e32 v12, v3, v7
	v_mul_f32_e32 v7, v2, v7
	v_fmac_f32_e32 v12, v2, v6
	v_fma_f32 v6, v6, v3, -v7
	v_cvt_f64_f32_e32 v[2:3], v12
	v_cvt_f64_f32_e32 v[6:7], v6
	v_mul_f64 v[2:3], v[2:3], s[0:1]
	v_mul_f64 v[6:7], v[6:7], s[0:1]
	v_cvt_f32_f64_e32 v2, v[2:3]
	v_cvt_f32_f64_e32 v3, v[6:7]
	global_store_dwordx2 v[8:9], v[2:3], off
	global_load_dwordx2 v[2:3], v11, s[8:9]
	v_mad_u64_u32 v[6:7], s[2:3], s4, v10, 0
	v_mov_b32_e32 v8, v7
	v_mad_u64_u32 v[8:9], s[2:3], s5, v10, v[8:9]
	v_mov_b32_e32 v7, v8
	v_lshl_add_u64 v[0:1], v[6:7], 3, v[0:1]
	s_waitcnt vmcnt(0)
	v_mul_f32_e32 v8, v5, v3
	v_mul_f32_e32 v3, v4, v3
	v_fmac_f32_e32 v8, v4, v2
	v_fma_f32 v4, v2, v5, -v3
	v_cvt_f64_f32_e32 v[2:3], v8
	v_cvt_f64_f32_e32 v[4:5], v4
	v_mul_f64 v[2:3], v[2:3], s[0:1]
	v_mul_f64 v[4:5], v[4:5], s[0:1]
	v_cvt_f32_f64_e32 v2, v[2:3]
	v_cvt_f32_f64_e32 v3, v[4:5]
	global_store_dwordx2 v[0:1], v[2:3], off
.LBB0_23:
	s_endpgm
	.section	.rodata,"a",@progbits
	.p2align	6, 0x0
	.amdhsa_kernel bluestein_single_fwd_len680_dim1_sp_op_CI_CI
		.amdhsa_group_segment_fixed_size 16320
		.amdhsa_private_segment_fixed_size 0
		.amdhsa_kernarg_size 104
		.amdhsa_user_sgpr_count 2
		.amdhsa_user_sgpr_dispatch_ptr 0
		.amdhsa_user_sgpr_queue_ptr 0
		.amdhsa_user_sgpr_kernarg_segment_ptr 1
		.amdhsa_user_sgpr_dispatch_id 0
		.amdhsa_user_sgpr_kernarg_preload_length 0
		.amdhsa_user_sgpr_kernarg_preload_offset 0
		.amdhsa_user_sgpr_private_segment_size 0
		.amdhsa_uses_dynamic_stack 0
		.amdhsa_enable_private_segment 0
		.amdhsa_system_sgpr_workgroup_id_x 1
		.amdhsa_system_sgpr_workgroup_id_y 0
		.amdhsa_system_sgpr_workgroup_id_z 0
		.amdhsa_system_sgpr_workgroup_info 0
		.amdhsa_system_vgpr_workitem_id 0
		.amdhsa_next_free_vgpr 286
		.amdhsa_next_free_sgpr 74
		.amdhsa_accum_offset 256
		.amdhsa_reserve_vcc 1
		.amdhsa_float_round_mode_32 0
		.amdhsa_float_round_mode_16_64 0
		.amdhsa_float_denorm_mode_32 3
		.amdhsa_float_denorm_mode_16_64 3
		.amdhsa_dx10_clamp 1
		.amdhsa_ieee_mode 1
		.amdhsa_fp16_overflow 0
		.amdhsa_tg_split 0
		.amdhsa_exception_fp_ieee_invalid_op 0
		.amdhsa_exception_fp_denorm_src 0
		.amdhsa_exception_fp_ieee_div_zero 0
		.amdhsa_exception_fp_ieee_overflow 0
		.amdhsa_exception_fp_ieee_underflow 0
		.amdhsa_exception_fp_ieee_inexact 0
		.amdhsa_exception_int_div_zero 0
	.end_amdhsa_kernel
	.text
.Lfunc_end0:
	.size	bluestein_single_fwd_len680_dim1_sp_op_CI_CI, .Lfunc_end0-bluestein_single_fwd_len680_dim1_sp_op_CI_CI
                                        ; -- End function
	.section	.AMDGPU.csdata,"",@progbits
; Kernel info:
; codeLenInByte = 17412
; NumSgprs: 80
; NumVgprs: 256
; NumAgprs: 30
; TotalNumVgprs: 286
; ScratchSize: 0
; MemoryBound: 0
; FloatMode: 240
; IeeeMode: 1
; LDSByteSize: 16320 bytes/workgroup (compile time only)
; SGPRBlocks: 9
; VGPRBlocks: 35
; NumSGPRsForWavesPerEU: 80
; NumVGPRsForWavesPerEU: 286
; AccumOffset: 256
; Occupancy: 1
; WaveLimiterHint : 1
; COMPUTE_PGM_RSRC2:SCRATCH_EN: 0
; COMPUTE_PGM_RSRC2:USER_SGPR: 2
; COMPUTE_PGM_RSRC2:TRAP_HANDLER: 0
; COMPUTE_PGM_RSRC2:TGID_X_EN: 1
; COMPUTE_PGM_RSRC2:TGID_Y_EN: 0
; COMPUTE_PGM_RSRC2:TGID_Z_EN: 0
; COMPUTE_PGM_RSRC2:TIDIG_COMP_CNT: 0
; COMPUTE_PGM_RSRC3_GFX90A:ACCUM_OFFSET: 63
; COMPUTE_PGM_RSRC3_GFX90A:TG_SPLIT: 0
	.text
	.p2alignl 6, 3212836864
	.fill 256, 4, 3212836864
	.type	__hip_cuid_14272e7bb35eaee2,@object ; @__hip_cuid_14272e7bb35eaee2
	.section	.bss,"aw",@nobits
	.globl	__hip_cuid_14272e7bb35eaee2
__hip_cuid_14272e7bb35eaee2:
	.byte	0                               ; 0x0
	.size	__hip_cuid_14272e7bb35eaee2, 1

	.ident	"AMD clang version 19.0.0git (https://github.com/RadeonOpenCompute/llvm-project roc-6.4.0 25133 c7fe45cf4b819c5991fe208aaa96edf142730f1d)"
	.section	".note.GNU-stack","",@progbits
	.addrsig
	.addrsig_sym __hip_cuid_14272e7bb35eaee2
	.amdgpu_metadata
---
amdhsa.kernels:
  - .agpr_count:     30
    .args:
      - .actual_access:  read_only
        .address_space:  global
        .offset:         0
        .size:           8
        .value_kind:     global_buffer
      - .actual_access:  read_only
        .address_space:  global
        .offset:         8
        .size:           8
        .value_kind:     global_buffer
      - .actual_access:  read_only
        .address_space:  global
        .offset:         16
        .size:           8
        .value_kind:     global_buffer
      - .actual_access:  read_only
        .address_space:  global
        .offset:         24
        .size:           8
        .value_kind:     global_buffer
      - .actual_access:  read_only
        .address_space:  global
        .offset:         32
        .size:           8
        .value_kind:     global_buffer
      - .offset:         40
        .size:           8
        .value_kind:     by_value
      - .address_space:  global
        .offset:         48
        .size:           8
        .value_kind:     global_buffer
      - .address_space:  global
        .offset:         56
        .size:           8
        .value_kind:     global_buffer
      - .address_space:  global
        .offset:         64
        .size:           8
        .value_kind:     global_buffer
      - .address_space:  global
        .offset:         72
        .size:           8
        .value_kind:     global_buffer
      - .offset:         80
        .size:           4
        .value_kind:     by_value
      - .address_space:  global
        .offset:         88
        .size:           8
        .value_kind:     global_buffer
      - .address_space:  global
        .offset:         96
        .size:           8
        .value_kind:     global_buffer
    .group_segment_fixed_size: 16320
    .kernarg_segment_align: 8
    .kernarg_segment_size: 104
    .language:       OpenCL C
    .language_version:
      - 2
      - 0
    .max_flat_workgroup_size: 204
    .name:           bluestein_single_fwd_len680_dim1_sp_op_CI_CI
    .private_segment_fixed_size: 0
    .sgpr_count:     80
    .sgpr_spill_count: 0
    .symbol:         bluestein_single_fwd_len680_dim1_sp_op_CI_CI.kd
    .uniform_work_group_size: 1
    .uses_dynamic_stack: false
    .vgpr_count:     286
    .vgpr_spill_count: 0
    .wavefront_size: 64
amdhsa.target:   amdgcn-amd-amdhsa--gfx950
amdhsa.version:
  - 1
  - 2
...

	.end_amdgpu_metadata
